;; amdgpu-corpus repo=ROCm/rocBLAS kind=compiled arch=gfx1100 opt=O3
	.text
	.amdgcn_target "amdgcn-amd-amdhsa--gfx1100"
	.amdhsa_code_object_version 6
	.section	.text._ZL40rocblas_copy_triangular_syrk_herk_kernelILb1ELb1ELb0EfPfLi16ELi16EEviT3_ilPT2_i,"axG",@progbits,_ZL40rocblas_copy_triangular_syrk_herk_kernelILb1ELb1ELb0EfPfLi16ELi16EEviT3_ilPT2_i,comdat
	.globl	_ZL40rocblas_copy_triangular_syrk_herk_kernelILb1ELb1ELb0EfPfLi16ELi16EEviT3_ilPT2_i ; -- Begin function _ZL40rocblas_copy_triangular_syrk_herk_kernelILb1ELb1ELb0EfPfLi16ELi16EEviT3_ilPT2_i
	.p2align	8
	.type	_ZL40rocblas_copy_triangular_syrk_herk_kernelILb1ELb1ELb0EfPfLi16ELi16EEviT3_ilPT2_i,@function
_ZL40rocblas_copy_triangular_syrk_herk_kernelILb1ELb1ELb0EfPfLi16ELi16EEviT3_ilPT2_i: ; @_ZL40rocblas_copy_triangular_syrk_herk_kernelILb1ELb1ELb0EfPfLi16ELi16EEviT3_ilPT2_i
; %bb.0:
	s_clause 0x1
	s_load_b32 s2, s[0:1], 0x3c
	s_load_b32 s3, s[0:1], 0x0
	v_bfe_u32 v1, v0, 10, 10
	v_and_b32_e32 v4, 0x3ff, v0
	s_waitcnt lgkmcnt(0)
	s_lshr_b32 s4, s2, 16
	s_and_b32 s2, s2, 0xffff
	v_mad_u64_u32 v[2:3], null, s14, s4, v[1:2]
	v_mad_u64_u32 v[0:1], null, s13, s2, v[4:5]
	s_delay_alu instid0(VALU_DEP_1) | instskip(SKIP_1) | instid1(VALU_DEP_2)
	v_max_i32_e32 v1, v2, v0
	v_cmp_gt_i32_e64 s2, v2, v0
	v_cmp_gt_i32_e32 vcc_lo, s3, v1
	s_delay_alu instid0(VALU_DEP_2) | instskip(NEXT) | instid1(SALU_CYCLE_1)
	s_and_b32 s2, s2, vcc_lo
	s_and_saveexec_b32 s4, s2
	s_cbranch_execz .LBB0_2
; %bb.1:
	s_clause 0x1
	s_load_b32 s8, s[0:1], 0x10
	s_load_b128 s[4:7], s[0:1], 0x18
	s_add_i32 s2, s3, -1
	s_load_b64 s[0:1], s[0:1], 0x8
	s_mul_hi_i32 s9, s2, s3
	s_mul_i32 s2, s2, s3
	s_lshr_b32 s3, s9, 31
	v_ashrrev_i32_e32 v3, 31, v2
	s_add_u32 s2, s2, s3
	s_addc_u32 s3, s9, 0
	s_delay_alu instid0(SALU_CYCLE_1) | instskip(NEXT) | instid1(VALU_DEP_1)
	s_ashr_i64 s[2:3], s[2:3], 1
	v_lshlrev_b64 v[6:7], 2, v[2:3]
	s_mul_i32 s3, s3, s15
	s_mul_hi_u32 s9, s2, s15
	s_mul_i32 s2, s2, s15
	s_add_i32 s3, s9, s3
	s_delay_alu instid0(SALU_CYCLE_1)
	s_lshl_b64 s[2:3], s[2:3], 2
	s_waitcnt lgkmcnt(0)
	v_mad_i64_i32 v[4:5], null, v0, s8, 0
	s_mul_i32 s5, s15, s5
	s_mul_hi_u32 s8, s15, s4
	s_add_u32 s6, s6, s2
	s_mul_i32 s2, s15, s4
	s_addc_u32 s4, s7, s3
	s_add_i32 s3, s8, s5
	s_delay_alu instid0(VALU_DEP_1) | instskip(SKIP_1) | instid1(SALU_CYCLE_1)
	v_lshlrev_b64 v[4:5], 2, v[4:5]
	s_lshl_b64 s[2:3], s[2:3], 2
	s_add_u32 s0, s0, s2
	s_addc_u32 s1, s1, s3
	s_delay_alu instid0(VALU_DEP_1) | instskip(NEXT) | instid1(VALU_DEP_2)
	v_add_co_u32 v1, vcc_lo, s0, v4
	v_add_co_ci_u32_e32 v4, vcc_lo, s1, v5, vcc_lo
	s_delay_alu instid0(VALU_DEP_2) | instskip(NEXT) | instid1(VALU_DEP_2)
	v_add_co_u32 v3, vcc_lo, v1, v6
	v_add_co_ci_u32_e32 v4, vcc_lo, v4, v7, vcc_lo
	v_add_nc_u32_e32 v1, -1, v2
	global_load_b32 v3, v[3:4], off
	v_mul_lo_u32 v1, v1, v2
	s_delay_alu instid0(VALU_DEP_1) | instskip(NEXT) | instid1(VALU_DEP_1)
	v_lshrrev_b32_e32 v2, 31, v1
	v_add_nc_u32_e32 v1, v1, v2
	s_delay_alu instid0(VALU_DEP_1) | instskip(NEXT) | instid1(VALU_DEP_1)
	v_ashrrev_i32_e32 v1, 1, v1
	v_add_nc_u32_e32 v0, v1, v0
	s_delay_alu instid0(VALU_DEP_1) | instskip(NEXT) | instid1(VALU_DEP_1)
	v_ashrrev_i32_e32 v1, 31, v0
	v_lshlrev_b64 v[0:1], 2, v[0:1]
	s_delay_alu instid0(VALU_DEP_1) | instskip(NEXT) | instid1(VALU_DEP_2)
	v_add_co_u32 v0, vcc_lo, s6, v0
	v_add_co_ci_u32_e32 v1, vcc_lo, s4, v1, vcc_lo
	s_waitcnt vmcnt(0)
	global_store_b32 v[0:1], v3, off
.LBB0_2:
	s_nop 0
	s_sendmsg sendmsg(MSG_DEALLOC_VGPRS)
	s_endpgm
	.section	.rodata,"a",@progbits
	.p2align	6, 0x0
	.amdhsa_kernel _ZL40rocblas_copy_triangular_syrk_herk_kernelILb1ELb1ELb0EfPfLi16ELi16EEviT3_ilPT2_i
		.amdhsa_group_segment_fixed_size 0
		.amdhsa_private_segment_fixed_size 0
		.amdhsa_kernarg_size 304
		.amdhsa_user_sgpr_count 13
		.amdhsa_user_sgpr_dispatch_ptr 0
		.amdhsa_user_sgpr_queue_ptr 0
		.amdhsa_user_sgpr_kernarg_segment_ptr 1
		.amdhsa_user_sgpr_dispatch_id 0
		.amdhsa_user_sgpr_private_segment_size 0
		.amdhsa_wavefront_size32 1
		.amdhsa_uses_dynamic_stack 0
		.amdhsa_enable_private_segment 0
		.amdhsa_system_sgpr_workgroup_id_x 1
		.amdhsa_system_sgpr_workgroup_id_y 1
		.amdhsa_system_sgpr_workgroup_id_z 1
		.amdhsa_system_sgpr_workgroup_info 0
		.amdhsa_system_vgpr_workitem_id 1
		.amdhsa_next_free_vgpr 8
		.amdhsa_next_free_sgpr 16
		.amdhsa_reserve_vcc 1
		.amdhsa_float_round_mode_32 0
		.amdhsa_float_round_mode_16_64 0
		.amdhsa_float_denorm_mode_32 3
		.amdhsa_float_denorm_mode_16_64 3
		.amdhsa_dx10_clamp 1
		.amdhsa_ieee_mode 1
		.amdhsa_fp16_overflow 0
		.amdhsa_workgroup_processor_mode 1
		.amdhsa_memory_ordered 1
		.amdhsa_forward_progress 0
		.amdhsa_shared_vgpr_count 0
		.amdhsa_exception_fp_ieee_invalid_op 0
		.amdhsa_exception_fp_denorm_src 0
		.amdhsa_exception_fp_ieee_div_zero 0
		.amdhsa_exception_fp_ieee_overflow 0
		.amdhsa_exception_fp_ieee_underflow 0
		.amdhsa_exception_fp_ieee_inexact 0
		.amdhsa_exception_int_div_zero 0
	.end_amdhsa_kernel
	.section	.text._ZL40rocblas_copy_triangular_syrk_herk_kernelILb1ELb1ELb0EfPfLi16ELi16EEviT3_ilPT2_i,"axG",@progbits,_ZL40rocblas_copy_triangular_syrk_herk_kernelILb1ELb1ELb0EfPfLi16ELi16EEviT3_ilPT2_i,comdat
.Lfunc_end0:
	.size	_ZL40rocblas_copy_triangular_syrk_herk_kernelILb1ELb1ELb0EfPfLi16ELi16EEviT3_ilPT2_i, .Lfunc_end0-_ZL40rocblas_copy_triangular_syrk_herk_kernelILb1ELb1ELb0EfPfLi16ELi16EEviT3_ilPT2_i
                                        ; -- End function
	.section	.AMDGPU.csdata,"",@progbits
; Kernel info:
; codeLenInByte = 392
; NumSgprs: 18
; NumVgprs: 8
; ScratchSize: 0
; MemoryBound: 0
; FloatMode: 240
; IeeeMode: 1
; LDSByteSize: 0 bytes/workgroup (compile time only)
; SGPRBlocks: 2
; VGPRBlocks: 0
; NumSGPRsForWavesPerEU: 18
; NumVGPRsForWavesPerEU: 8
; Occupancy: 16
; WaveLimiterHint : 0
; COMPUTE_PGM_RSRC2:SCRATCH_EN: 0
; COMPUTE_PGM_RSRC2:USER_SGPR: 13
; COMPUTE_PGM_RSRC2:TRAP_HANDLER: 0
; COMPUTE_PGM_RSRC2:TGID_X_EN: 1
; COMPUTE_PGM_RSRC2:TGID_Y_EN: 1
; COMPUTE_PGM_RSRC2:TGID_Z_EN: 1
; COMPUTE_PGM_RSRC2:TIDIG_COMP_CNT: 1
	.section	.text._ZL40rocblas_copy_triangular_syrk_herk_kernelILb1ELb0ELb0EfPfLi16ELi16EEviT3_ilPT2_i,"axG",@progbits,_ZL40rocblas_copy_triangular_syrk_herk_kernelILb1ELb0ELb0EfPfLi16ELi16EEviT3_ilPT2_i,comdat
	.globl	_ZL40rocblas_copy_triangular_syrk_herk_kernelILb1ELb0ELb0EfPfLi16ELi16EEviT3_ilPT2_i ; -- Begin function _ZL40rocblas_copy_triangular_syrk_herk_kernelILb1ELb0ELb0EfPfLi16ELi16EEviT3_ilPT2_i
	.p2align	8
	.type	_ZL40rocblas_copy_triangular_syrk_herk_kernelILb1ELb0ELb0EfPfLi16ELi16EEviT3_ilPT2_i,@function
_ZL40rocblas_copy_triangular_syrk_herk_kernelILb1ELb0ELb0EfPfLi16ELi16EEviT3_ilPT2_i: ; @_ZL40rocblas_copy_triangular_syrk_herk_kernelILb1ELb0ELb0EfPfLi16ELi16EEviT3_ilPT2_i
; %bb.0:
	s_clause 0x1
	s_load_b32 s2, s[0:1], 0x3c
	s_load_b32 s3, s[0:1], 0x0
	v_bfe_u32 v1, v0, 10, 10
	v_and_b32_e32 v4, 0x3ff, v0
	s_waitcnt lgkmcnt(0)
	s_lshr_b32 s4, s2, 16
	s_and_b32 s2, s2, 0xffff
	v_mad_u64_u32 v[2:3], null, s14, s4, v[1:2]
	v_mad_u64_u32 v[0:1], null, s13, s2, v[4:5]
	s_delay_alu instid0(VALU_DEP_1) | instskip(SKIP_1) | instid1(VALU_DEP_2)
	v_max_i32_e32 v1, v2, v0
	v_cmp_lt_i32_e64 s2, v2, v0
	v_cmp_gt_i32_e32 vcc_lo, s3, v1
	s_delay_alu instid0(VALU_DEP_2) | instskip(NEXT) | instid1(SALU_CYCLE_1)
	s_and_b32 s2, s2, vcc_lo
	s_and_saveexec_b32 s4, s2
	s_cbranch_execz .LBB1_2
; %bb.1:
	s_clause 0x1
	s_load_b32 s2, s[0:1], 0x10
	s_load_b128 s[4:7], s[0:1], 0x18
	s_add_i32 s8, s3, -1
	s_load_b64 s[0:1], s[0:1], 0x8
	s_mul_hi_i32 s9, s8, s3
	s_mul_i32 s8, s8, s3
	s_lshr_b32 s10, s9, 31
	v_ashrrev_i32_e32 v3, 31, v2
	s_add_u32 s8, s8, s10
	s_addc_u32 s9, s9, 0
	s_delay_alu instid0(SALU_CYCLE_1) | instskip(NEXT) | instid1(VALU_DEP_1)
	s_ashr_i64 s[8:9], s[8:9], 1
	v_lshlrev_b64 v[6:7], 2, v[2:3]
	s_mul_i32 s9, s9, s15
	s_mul_hi_u32 s10, s8, s15
	s_mul_i32 s8, s8, s15
	s_add_i32 s9, s10, s9
	s_delay_alu instid0(SALU_CYCLE_1)
	s_lshl_b64 s[8:9], s[8:9], 2
	s_waitcnt lgkmcnt(0)
	v_mad_i64_i32 v[4:5], null, v0, s2, 0
	s_add_u32 s2, s6, s8
	s_mul_i32 s5, s15, s5
	s_mul_hi_u32 s6, s15, s4
	s_mul_i32 s4, s15, s4
	s_addc_u32 s7, s7, s9
	s_add_i32 s5, s6, s5
	s_delay_alu instid0(VALU_DEP_1) | instskip(SKIP_1) | instid1(SALU_CYCLE_1)
	v_lshlrev_b64 v[4:5], 2, v[4:5]
	s_lshl_b64 s[4:5], s[4:5], 2
	s_add_u32 s0, s0, s4
	s_addc_u32 s1, s1, s5
	s_delay_alu instid0(VALU_DEP_1) | instskip(NEXT) | instid1(VALU_DEP_2)
	v_add_co_u32 v1, vcc_lo, s0, v4
	v_add_co_ci_u32_e32 v4, vcc_lo, s1, v5, vcc_lo
	s_delay_alu instid0(VALU_DEP_2) | instskip(NEXT) | instid1(VALU_DEP_2)
	v_add_co_u32 v3, vcc_lo, v1, v6
	v_add_co_ci_u32_e32 v4, vcc_lo, v4, v7, vcc_lo
	v_not_b32_e32 v1, v2
	global_load_b32 v3, v[3:4], off
	v_lshl_add_u32 v4, s3, 1, v1
	s_delay_alu instid0(VALU_DEP_1) | instskip(NEXT) | instid1(VALU_DEP_1)
	v_mul_lo_u32 v2, v4, v2
	v_lshrrev_b32_e32 v4, 31, v2
	s_delay_alu instid0(VALU_DEP_1) | instskip(NEXT) | instid1(VALU_DEP_1)
	v_add_nc_u32_e32 v2, v2, v4
	v_ashrrev_i32_e32 v2, 1, v2
	s_delay_alu instid0(VALU_DEP_1) | instskip(NEXT) | instid1(VALU_DEP_1)
	v_add3_u32 v0, v0, v1, v2
	v_ashrrev_i32_e32 v1, 31, v0
	s_delay_alu instid0(VALU_DEP_1) | instskip(NEXT) | instid1(VALU_DEP_1)
	v_lshlrev_b64 v[0:1], 2, v[0:1]
	v_add_co_u32 v0, vcc_lo, s2, v0
	s_delay_alu instid0(VALU_DEP_2)
	v_add_co_ci_u32_e32 v1, vcc_lo, s7, v1, vcc_lo
	s_waitcnt vmcnt(0)
	global_store_b32 v[0:1], v3, off
.LBB1_2:
	s_nop 0
	s_sendmsg sendmsg(MSG_DEALLOC_VGPRS)
	s_endpgm
	.section	.rodata,"a",@progbits
	.p2align	6, 0x0
	.amdhsa_kernel _ZL40rocblas_copy_triangular_syrk_herk_kernelILb1ELb0ELb0EfPfLi16ELi16EEviT3_ilPT2_i
		.amdhsa_group_segment_fixed_size 0
		.amdhsa_private_segment_fixed_size 0
		.amdhsa_kernarg_size 304
		.amdhsa_user_sgpr_count 13
		.amdhsa_user_sgpr_dispatch_ptr 0
		.amdhsa_user_sgpr_queue_ptr 0
		.amdhsa_user_sgpr_kernarg_segment_ptr 1
		.amdhsa_user_sgpr_dispatch_id 0
		.amdhsa_user_sgpr_private_segment_size 0
		.amdhsa_wavefront_size32 1
		.amdhsa_uses_dynamic_stack 0
		.amdhsa_enable_private_segment 0
		.amdhsa_system_sgpr_workgroup_id_x 1
		.amdhsa_system_sgpr_workgroup_id_y 1
		.amdhsa_system_sgpr_workgroup_id_z 1
		.amdhsa_system_sgpr_workgroup_info 0
		.amdhsa_system_vgpr_workitem_id 1
		.amdhsa_next_free_vgpr 8
		.amdhsa_next_free_sgpr 16
		.amdhsa_reserve_vcc 1
		.amdhsa_float_round_mode_32 0
		.amdhsa_float_round_mode_16_64 0
		.amdhsa_float_denorm_mode_32 3
		.amdhsa_float_denorm_mode_16_64 3
		.amdhsa_dx10_clamp 1
		.amdhsa_ieee_mode 1
		.amdhsa_fp16_overflow 0
		.amdhsa_workgroup_processor_mode 1
		.amdhsa_memory_ordered 1
		.amdhsa_forward_progress 0
		.amdhsa_shared_vgpr_count 0
		.amdhsa_exception_fp_ieee_invalid_op 0
		.amdhsa_exception_fp_denorm_src 0
		.amdhsa_exception_fp_ieee_div_zero 0
		.amdhsa_exception_fp_ieee_overflow 0
		.amdhsa_exception_fp_ieee_underflow 0
		.amdhsa_exception_fp_ieee_inexact 0
		.amdhsa_exception_int_div_zero 0
	.end_amdhsa_kernel
	.section	.text._ZL40rocblas_copy_triangular_syrk_herk_kernelILb1ELb0ELb0EfPfLi16ELi16EEviT3_ilPT2_i,"axG",@progbits,_ZL40rocblas_copy_triangular_syrk_herk_kernelILb1ELb0ELb0EfPfLi16ELi16EEviT3_ilPT2_i,comdat
.Lfunc_end1:
	.size	_ZL40rocblas_copy_triangular_syrk_herk_kernelILb1ELb0ELb0EfPfLi16ELi16EEviT3_ilPT2_i, .Lfunc_end1-_ZL40rocblas_copy_triangular_syrk_herk_kernelILb1ELb0ELb0EfPfLi16ELi16EEviT3_ilPT2_i
                                        ; -- End function
	.section	.AMDGPU.csdata,"",@progbits
; Kernel info:
; codeLenInByte = 408
; NumSgprs: 18
; NumVgprs: 8
; ScratchSize: 0
; MemoryBound: 0
; FloatMode: 240
; IeeeMode: 1
; LDSByteSize: 0 bytes/workgroup (compile time only)
; SGPRBlocks: 2
; VGPRBlocks: 0
; NumSGPRsForWavesPerEU: 18
; NumVGPRsForWavesPerEU: 8
; Occupancy: 16
; WaveLimiterHint : 0
; COMPUTE_PGM_RSRC2:SCRATCH_EN: 0
; COMPUTE_PGM_RSRC2:USER_SGPR: 13
; COMPUTE_PGM_RSRC2:TRAP_HANDLER: 0
; COMPUTE_PGM_RSRC2:TGID_X_EN: 1
; COMPUTE_PGM_RSRC2:TGID_Y_EN: 1
; COMPUTE_PGM_RSRC2:TGID_Z_EN: 1
; COMPUTE_PGM_RSRC2:TIDIG_COMP_CNT: 1
	.section	.text._ZL40rocblas_copy_triangular_syrk_herk_kernelILb0ELb1ELb0EfPfLi16ELi16EEviT3_ilPT2_i,"axG",@progbits,_ZL40rocblas_copy_triangular_syrk_herk_kernelILb0ELb1ELb0EfPfLi16ELi16EEviT3_ilPT2_i,comdat
	.globl	_ZL40rocblas_copy_triangular_syrk_herk_kernelILb0ELb1ELb0EfPfLi16ELi16EEviT3_ilPT2_i ; -- Begin function _ZL40rocblas_copy_triangular_syrk_herk_kernelILb0ELb1ELb0EfPfLi16ELi16EEviT3_ilPT2_i
	.p2align	8
	.type	_ZL40rocblas_copy_triangular_syrk_herk_kernelILb0ELb1ELb0EfPfLi16ELi16EEviT3_ilPT2_i,@function
_ZL40rocblas_copy_triangular_syrk_herk_kernelILb0ELb1ELb0EfPfLi16ELi16EEviT3_ilPT2_i: ; @_ZL40rocblas_copy_triangular_syrk_herk_kernelILb0ELb1ELb0EfPfLi16ELi16EEviT3_ilPT2_i
; %bb.0:
	s_clause 0x1
	s_load_b32 s2, s[0:1], 0x3c
	s_load_b32 s3, s[0:1], 0x0
	v_bfe_u32 v2, v0, 10, 10
	v_and_b32_e32 v3, 0x3ff, v0
	s_waitcnt lgkmcnt(0)
	s_lshr_b32 s4, s2, 16
	s_and_b32 s2, s2, 0xffff
	s_delay_alu instid0(VALU_DEP_1) | instskip(SKIP_1) | instid1(VALU_DEP_1)
	v_mad_u64_u32 v[0:1], null, s14, s4, v[2:3]
	v_mad_u64_u32 v[1:2], null, s13, s2, v[3:4]
	v_max_i32_e32 v2, v0, v1
	v_cmp_gt_i32_e64 s2, v0, v1
	s_delay_alu instid0(VALU_DEP_2) | instskip(NEXT) | instid1(VALU_DEP_2)
	v_cmp_gt_i32_e32 vcc_lo, s3, v2
	s_and_b32 s2, s2, vcc_lo
	s_delay_alu instid0(SALU_CYCLE_1)
	s_and_saveexec_b32 s4, s2
	s_cbranch_execz .LBB2_2
; %bb.1:
	v_add_nc_u32_e32 v2, -1, v0
	s_load_b128 s[4:7], s[0:1], 0x18
	s_add_i32 s2, s3, -1
	s_delay_alu instid0(SALU_CYCLE_1) | instskip(NEXT) | instid1(VALU_DEP_1)
	s_mul_hi_i32 s8, s2, s3
	v_mul_lo_u32 v2, v2, v0
	s_mul_i32 s2, s2, s3
	s_lshr_b32 s3, s8, 31
	s_delay_alu instid0(SALU_CYCLE_1) | instskip(SKIP_1) | instid1(SALU_CYCLE_1)
	s_add_u32 s2, s2, s3
	s_addc_u32 s3, s8, 0
	s_ashr_i64 s[2:3], s[2:3], 1
	s_delay_alu instid0(VALU_DEP_1)
	v_lshrrev_b32_e32 v3, 31, v2
	s_mul_i32 s3, s3, s15
	s_mul_hi_u32 s8, s2, s15
	s_mul_i32 s2, s2, s15
	s_add_i32 s3, s8, s3
	v_add_nc_u32_e32 v2, v2, v3
	s_lshl_b64 s[2:3], s[2:3], 2
	s_waitcnt lgkmcnt(0)
	s_add_u32 s2, s6, s2
	s_addc_u32 s3, s7, s3
	v_ashrrev_i32_e32 v2, 1, v2
	s_delay_alu instid0(VALU_DEP_1) | instskip(NEXT) | instid1(VALU_DEP_1)
	v_add_nc_u32_e32 v2, v2, v1
	v_ashrrev_i32_e32 v3, 31, v2
	s_delay_alu instid0(VALU_DEP_1) | instskip(NEXT) | instid1(VALU_DEP_1)
	v_lshlrev_b64 v[2:3], 2, v[2:3]
	v_add_co_u32 v2, vcc_lo, s2, v2
	s_delay_alu instid0(VALU_DEP_2)
	v_add_co_ci_u32_e32 v3, vcc_lo, s3, v3, vcc_lo
	s_mul_i32 s3, s15, s5
	global_load_b32 v4, v[2:3], off
	s_clause 0x1
	s_load_b32 s2, s[0:1], 0x10
	s_load_b64 s[0:1], s[0:1], 0x8
	s_waitcnt lgkmcnt(0)
	v_mad_i64_i32 v[2:3], null, v1, s2, 0
	s_mul_hi_u32 s2, s15, s4
	v_ashrrev_i32_e32 v1, 31, v0
	s_add_i32 s3, s2, s3
	s_mul_i32 s2, s15, s4
	s_delay_alu instid0(SALU_CYCLE_1) | instskip(NEXT) | instid1(VALU_DEP_2)
	s_lshl_b64 s[2:3], s[2:3], 2
	v_lshlrev_b64 v[2:3], 2, v[2:3]
	s_add_u32 s0, s0, s2
	v_lshlrev_b64 v[0:1], 2, v[0:1]
	s_addc_u32 s1, s1, s3
	s_delay_alu instid0(VALU_DEP_2) | instskip(NEXT) | instid1(VALU_DEP_3)
	v_add_co_u32 v2, vcc_lo, s0, v2
	v_add_co_ci_u32_e32 v3, vcc_lo, s1, v3, vcc_lo
	s_delay_alu instid0(VALU_DEP_2) | instskip(NEXT) | instid1(VALU_DEP_2)
	v_add_co_u32 v0, vcc_lo, v2, v0
	v_add_co_ci_u32_e32 v1, vcc_lo, v3, v1, vcc_lo
	s_waitcnt vmcnt(0)
	global_store_b32 v[0:1], v4, off
.LBB2_2:
	s_nop 0
	s_sendmsg sendmsg(MSG_DEALLOC_VGPRS)
	s_endpgm
	.section	.rodata,"a",@progbits
	.p2align	6, 0x0
	.amdhsa_kernel _ZL40rocblas_copy_triangular_syrk_herk_kernelILb0ELb1ELb0EfPfLi16ELi16EEviT3_ilPT2_i
		.amdhsa_group_segment_fixed_size 0
		.amdhsa_private_segment_fixed_size 0
		.amdhsa_kernarg_size 304
		.amdhsa_user_sgpr_count 13
		.amdhsa_user_sgpr_dispatch_ptr 0
		.amdhsa_user_sgpr_queue_ptr 0
		.amdhsa_user_sgpr_kernarg_segment_ptr 1
		.amdhsa_user_sgpr_dispatch_id 0
		.amdhsa_user_sgpr_private_segment_size 0
		.amdhsa_wavefront_size32 1
		.amdhsa_uses_dynamic_stack 0
		.amdhsa_enable_private_segment 0
		.amdhsa_system_sgpr_workgroup_id_x 1
		.amdhsa_system_sgpr_workgroup_id_y 1
		.amdhsa_system_sgpr_workgroup_id_z 1
		.amdhsa_system_sgpr_workgroup_info 0
		.amdhsa_system_vgpr_workitem_id 1
		.amdhsa_next_free_vgpr 5
		.amdhsa_next_free_sgpr 16
		.amdhsa_reserve_vcc 1
		.amdhsa_float_round_mode_32 0
		.amdhsa_float_round_mode_16_64 0
		.amdhsa_float_denorm_mode_32 3
		.amdhsa_float_denorm_mode_16_64 3
		.amdhsa_dx10_clamp 1
		.amdhsa_ieee_mode 1
		.amdhsa_fp16_overflow 0
		.amdhsa_workgroup_processor_mode 1
		.amdhsa_memory_ordered 1
		.amdhsa_forward_progress 0
		.amdhsa_shared_vgpr_count 0
		.amdhsa_exception_fp_ieee_invalid_op 0
		.amdhsa_exception_fp_denorm_src 0
		.amdhsa_exception_fp_ieee_div_zero 0
		.amdhsa_exception_fp_ieee_overflow 0
		.amdhsa_exception_fp_ieee_underflow 0
		.amdhsa_exception_fp_ieee_inexact 0
		.amdhsa_exception_int_div_zero 0
	.end_amdhsa_kernel
	.section	.text._ZL40rocblas_copy_triangular_syrk_herk_kernelILb0ELb1ELb0EfPfLi16ELi16EEviT3_ilPT2_i,"axG",@progbits,_ZL40rocblas_copy_triangular_syrk_herk_kernelILb0ELb1ELb0EfPfLi16ELi16EEviT3_ilPT2_i,comdat
.Lfunc_end2:
	.size	_ZL40rocblas_copy_triangular_syrk_herk_kernelILb0ELb1ELb0EfPfLi16ELi16EEviT3_ilPT2_i, .Lfunc_end2-_ZL40rocblas_copy_triangular_syrk_herk_kernelILb0ELb1ELb0EfPfLi16ELi16EEviT3_ilPT2_i
                                        ; -- End function
	.section	.AMDGPU.csdata,"",@progbits
; Kernel info:
; codeLenInByte = 400
; NumSgprs: 18
; NumVgprs: 5
; ScratchSize: 0
; MemoryBound: 0
; FloatMode: 240
; IeeeMode: 1
; LDSByteSize: 0 bytes/workgroup (compile time only)
; SGPRBlocks: 2
; VGPRBlocks: 0
; NumSGPRsForWavesPerEU: 18
; NumVGPRsForWavesPerEU: 5
; Occupancy: 16
; WaveLimiterHint : 0
; COMPUTE_PGM_RSRC2:SCRATCH_EN: 0
; COMPUTE_PGM_RSRC2:USER_SGPR: 13
; COMPUTE_PGM_RSRC2:TRAP_HANDLER: 0
; COMPUTE_PGM_RSRC2:TGID_X_EN: 1
; COMPUTE_PGM_RSRC2:TGID_Y_EN: 1
; COMPUTE_PGM_RSRC2:TGID_Z_EN: 1
; COMPUTE_PGM_RSRC2:TIDIG_COMP_CNT: 1
	.section	.text._ZL40rocblas_copy_triangular_syrk_herk_kernelILb0ELb0ELb0EfPfLi16ELi16EEviT3_ilPT2_i,"axG",@progbits,_ZL40rocblas_copy_triangular_syrk_herk_kernelILb0ELb0ELb0EfPfLi16ELi16EEviT3_ilPT2_i,comdat
	.globl	_ZL40rocblas_copy_triangular_syrk_herk_kernelILb0ELb0ELb0EfPfLi16ELi16EEviT3_ilPT2_i ; -- Begin function _ZL40rocblas_copy_triangular_syrk_herk_kernelILb0ELb0ELb0EfPfLi16ELi16EEviT3_ilPT2_i
	.p2align	8
	.type	_ZL40rocblas_copy_triangular_syrk_herk_kernelILb0ELb0ELb0EfPfLi16ELi16EEviT3_ilPT2_i,@function
_ZL40rocblas_copy_triangular_syrk_herk_kernelILb0ELb0ELb0EfPfLi16ELi16EEviT3_ilPT2_i: ; @_ZL40rocblas_copy_triangular_syrk_herk_kernelILb0ELb0ELb0EfPfLi16ELi16EEviT3_ilPT2_i
; %bb.0:
	s_clause 0x1
	s_load_b32 s2, s[0:1], 0x3c
	s_load_b32 s3, s[0:1], 0x0
	v_bfe_u32 v2, v0, 10, 10
	v_and_b32_e32 v3, 0x3ff, v0
	s_waitcnt lgkmcnt(0)
	s_lshr_b32 s4, s2, 16
	s_and_b32 s2, s2, 0xffff
	s_delay_alu instid0(VALU_DEP_1) | instskip(SKIP_1) | instid1(VALU_DEP_1)
	v_mad_u64_u32 v[0:1], null, s14, s4, v[2:3]
	v_mad_u64_u32 v[1:2], null, s13, s2, v[3:4]
	v_max_i32_e32 v2, v0, v1
	v_cmp_lt_i32_e64 s2, v0, v1
	s_delay_alu instid0(VALU_DEP_2) | instskip(NEXT) | instid1(VALU_DEP_2)
	v_cmp_gt_i32_e32 vcc_lo, s3, v2
	s_and_b32 s2, s2, vcc_lo
	s_delay_alu instid0(SALU_CYCLE_1)
	s_and_saveexec_b32 s4, s2
	s_cbranch_execz .LBB3_2
; %bb.1:
	v_not_b32_e32 v2, v0
	s_load_b128 s[4:7], s[0:1], 0x18
	s_add_i32 s2, s3, -1
	s_delay_alu instid0(SALU_CYCLE_1) | instskip(NEXT) | instid1(VALU_DEP_1)
	s_mul_hi_i32 s8, s2, s3
	v_lshl_add_u32 v3, s3, 1, v2
	s_mul_i32 s2, s2, s3
	s_lshr_b32 s3, s8, 31
	s_delay_alu instid0(SALU_CYCLE_1) | instskip(NEXT) | instid1(VALU_DEP_1)
	s_add_u32 s2, s2, s3
	v_mul_lo_u32 v3, v3, v0
	s_addc_u32 s3, s8, 0
	s_delay_alu instid0(SALU_CYCLE_1) | instskip(NEXT) | instid1(SALU_CYCLE_1)
	s_ashr_i64 s[2:3], s[2:3], 1
	s_mul_i32 s3, s3, s15
	s_mul_hi_u32 s8, s2, s15
	s_mul_i32 s2, s2, s15
	s_delay_alu instid0(VALU_DEP_1) | instskip(SKIP_1) | instid1(SALU_CYCLE_1)
	v_lshrrev_b32_e32 v4, 31, v3
	s_add_i32 s3, s8, s3
	s_lshl_b64 s[2:3], s[2:3], 2
	s_waitcnt lgkmcnt(0)
	s_add_u32 s2, s6, s2
	v_add_nc_u32_e32 v3, v3, v4
	s_addc_u32 s3, s7, s3
	s_delay_alu instid0(VALU_DEP_1) | instskip(NEXT) | instid1(VALU_DEP_1)
	v_ashrrev_i32_e32 v3, 1, v3
	v_add3_u32 v2, v1, v2, v3
	s_delay_alu instid0(VALU_DEP_1) | instskip(NEXT) | instid1(VALU_DEP_1)
	v_ashrrev_i32_e32 v3, 31, v2
	v_lshlrev_b64 v[2:3], 2, v[2:3]
	s_delay_alu instid0(VALU_DEP_1) | instskip(NEXT) | instid1(VALU_DEP_2)
	v_add_co_u32 v2, vcc_lo, s2, v2
	v_add_co_ci_u32_e32 v3, vcc_lo, s3, v3, vcc_lo
	s_mul_i32 s3, s15, s5
	global_load_b32 v4, v[2:3], off
	s_clause 0x1
	s_load_b32 s2, s[0:1], 0x10
	s_load_b64 s[0:1], s[0:1], 0x8
	s_waitcnt lgkmcnt(0)
	v_mad_i64_i32 v[2:3], null, v1, s2, 0
	s_mul_hi_u32 s2, s15, s4
	v_ashrrev_i32_e32 v1, 31, v0
	s_add_i32 s3, s2, s3
	s_mul_i32 s2, s15, s4
	s_delay_alu instid0(SALU_CYCLE_1) | instskip(NEXT) | instid1(VALU_DEP_2)
	s_lshl_b64 s[2:3], s[2:3], 2
	v_lshlrev_b64 v[2:3], 2, v[2:3]
	s_add_u32 s0, s0, s2
	v_lshlrev_b64 v[0:1], 2, v[0:1]
	s_addc_u32 s1, s1, s3
	s_delay_alu instid0(VALU_DEP_2) | instskip(NEXT) | instid1(VALU_DEP_3)
	v_add_co_u32 v2, vcc_lo, s0, v2
	v_add_co_ci_u32_e32 v3, vcc_lo, s1, v3, vcc_lo
	s_delay_alu instid0(VALU_DEP_2) | instskip(NEXT) | instid1(VALU_DEP_2)
	v_add_co_u32 v0, vcc_lo, v2, v0
	v_add_co_ci_u32_e32 v1, vcc_lo, v3, v1, vcc_lo
	s_waitcnt vmcnt(0)
	global_store_b32 v[0:1], v4, off
.LBB3_2:
	s_nop 0
	s_sendmsg sendmsg(MSG_DEALLOC_VGPRS)
	s_endpgm
	.section	.rodata,"a",@progbits
	.p2align	6, 0x0
	.amdhsa_kernel _ZL40rocblas_copy_triangular_syrk_herk_kernelILb0ELb0ELb0EfPfLi16ELi16EEviT3_ilPT2_i
		.amdhsa_group_segment_fixed_size 0
		.amdhsa_private_segment_fixed_size 0
		.amdhsa_kernarg_size 304
		.amdhsa_user_sgpr_count 13
		.amdhsa_user_sgpr_dispatch_ptr 0
		.amdhsa_user_sgpr_queue_ptr 0
		.amdhsa_user_sgpr_kernarg_segment_ptr 1
		.amdhsa_user_sgpr_dispatch_id 0
		.amdhsa_user_sgpr_private_segment_size 0
		.amdhsa_wavefront_size32 1
		.amdhsa_uses_dynamic_stack 0
		.amdhsa_enable_private_segment 0
		.amdhsa_system_sgpr_workgroup_id_x 1
		.amdhsa_system_sgpr_workgroup_id_y 1
		.amdhsa_system_sgpr_workgroup_id_z 1
		.amdhsa_system_sgpr_workgroup_info 0
		.amdhsa_system_vgpr_workitem_id 1
		.amdhsa_next_free_vgpr 5
		.amdhsa_next_free_sgpr 16
		.amdhsa_reserve_vcc 1
		.amdhsa_float_round_mode_32 0
		.amdhsa_float_round_mode_16_64 0
		.amdhsa_float_denorm_mode_32 3
		.amdhsa_float_denorm_mode_16_64 3
		.amdhsa_dx10_clamp 1
		.amdhsa_ieee_mode 1
		.amdhsa_fp16_overflow 0
		.amdhsa_workgroup_processor_mode 1
		.amdhsa_memory_ordered 1
		.amdhsa_forward_progress 0
		.amdhsa_shared_vgpr_count 0
		.amdhsa_exception_fp_ieee_invalid_op 0
		.amdhsa_exception_fp_denorm_src 0
		.amdhsa_exception_fp_ieee_div_zero 0
		.amdhsa_exception_fp_ieee_overflow 0
		.amdhsa_exception_fp_ieee_underflow 0
		.amdhsa_exception_fp_ieee_inexact 0
		.amdhsa_exception_int_div_zero 0
	.end_amdhsa_kernel
	.section	.text._ZL40rocblas_copy_triangular_syrk_herk_kernelILb0ELb0ELb0EfPfLi16ELi16EEviT3_ilPT2_i,"axG",@progbits,_ZL40rocblas_copy_triangular_syrk_herk_kernelILb0ELb0ELb0EfPfLi16ELi16EEviT3_ilPT2_i,comdat
.Lfunc_end3:
	.size	_ZL40rocblas_copy_triangular_syrk_herk_kernelILb0ELb0ELb0EfPfLi16ELi16EEviT3_ilPT2_i, .Lfunc_end3-_ZL40rocblas_copy_triangular_syrk_herk_kernelILb0ELb0ELb0EfPfLi16ELi16EEviT3_ilPT2_i
                                        ; -- End function
	.section	.AMDGPU.csdata,"",@progbits
; Kernel info:
; codeLenInByte = 416
; NumSgprs: 18
; NumVgprs: 5
; ScratchSize: 0
; MemoryBound: 0
; FloatMode: 240
; IeeeMode: 1
; LDSByteSize: 0 bytes/workgroup (compile time only)
; SGPRBlocks: 2
; VGPRBlocks: 0
; NumSGPRsForWavesPerEU: 18
; NumVGPRsForWavesPerEU: 5
; Occupancy: 16
; WaveLimiterHint : 0
; COMPUTE_PGM_RSRC2:SCRATCH_EN: 0
; COMPUTE_PGM_RSRC2:USER_SGPR: 13
; COMPUTE_PGM_RSRC2:TRAP_HANDLER: 0
; COMPUTE_PGM_RSRC2:TGID_X_EN: 1
; COMPUTE_PGM_RSRC2:TGID_Y_EN: 1
; COMPUTE_PGM_RSRC2:TGID_Z_EN: 1
; COMPUTE_PGM_RSRC2:TIDIG_COMP_CNT: 1
	.section	.text._ZL40rocblas_copy_triangular_syrk_herk_kernelILb1ELb1ELb0EdPdLi16ELi16EEviT3_ilPT2_i,"axG",@progbits,_ZL40rocblas_copy_triangular_syrk_herk_kernelILb1ELb1ELb0EdPdLi16ELi16EEviT3_ilPT2_i,comdat
	.globl	_ZL40rocblas_copy_triangular_syrk_herk_kernelILb1ELb1ELb0EdPdLi16ELi16EEviT3_ilPT2_i ; -- Begin function _ZL40rocblas_copy_triangular_syrk_herk_kernelILb1ELb1ELb0EdPdLi16ELi16EEviT3_ilPT2_i
	.p2align	8
	.type	_ZL40rocblas_copy_triangular_syrk_herk_kernelILb1ELb1ELb0EdPdLi16ELi16EEviT3_ilPT2_i,@function
_ZL40rocblas_copy_triangular_syrk_herk_kernelILb1ELb1ELb0EdPdLi16ELi16EEviT3_ilPT2_i: ; @_ZL40rocblas_copy_triangular_syrk_herk_kernelILb1ELb1ELb0EdPdLi16ELi16EEviT3_ilPT2_i
; %bb.0:
	s_clause 0x1
	s_load_b32 s2, s[0:1], 0x3c
	s_load_b32 s3, s[0:1], 0x0
	v_bfe_u32 v1, v0, 10, 10
	v_and_b32_e32 v4, 0x3ff, v0
	s_waitcnt lgkmcnt(0)
	s_lshr_b32 s4, s2, 16
	s_and_b32 s2, s2, 0xffff
	v_mad_u64_u32 v[2:3], null, s14, s4, v[1:2]
	v_mad_u64_u32 v[0:1], null, s13, s2, v[4:5]
	s_delay_alu instid0(VALU_DEP_1) | instskip(SKIP_1) | instid1(VALU_DEP_2)
	v_max_i32_e32 v1, v2, v0
	v_cmp_gt_i32_e64 s2, v2, v0
	v_cmp_gt_i32_e32 vcc_lo, s3, v1
	s_delay_alu instid0(VALU_DEP_2) | instskip(NEXT) | instid1(SALU_CYCLE_1)
	s_and_b32 s2, s2, vcc_lo
	s_and_saveexec_b32 s4, s2
	s_cbranch_execz .LBB4_2
; %bb.1:
	s_clause 0x1
	s_load_b32 s8, s[0:1], 0x10
	s_load_b128 s[4:7], s[0:1], 0x18
	s_add_i32 s2, s3, -1
	s_load_b64 s[0:1], s[0:1], 0x8
	s_mul_hi_i32 s9, s2, s3
	s_mul_i32 s2, s2, s3
	s_lshr_b32 s3, s9, 31
	v_ashrrev_i32_e32 v3, 31, v2
	s_add_u32 s2, s2, s3
	s_addc_u32 s3, s9, 0
	s_delay_alu instid0(SALU_CYCLE_1) | instskip(NEXT) | instid1(VALU_DEP_1)
	s_ashr_i64 s[2:3], s[2:3], 1
	v_lshlrev_b64 v[6:7], 3, v[2:3]
	s_mul_i32 s3, s3, s15
	s_mul_hi_u32 s9, s2, s15
	s_mul_i32 s2, s2, s15
	s_add_i32 s3, s9, s3
	s_delay_alu instid0(SALU_CYCLE_1)
	s_lshl_b64 s[2:3], s[2:3], 3
	s_waitcnt lgkmcnt(0)
	v_mad_i64_i32 v[4:5], null, v0, s8, 0
	s_mul_i32 s5, s15, s5
	s_mul_hi_u32 s8, s15, s4
	s_add_u32 s6, s6, s2
	s_mul_i32 s2, s15, s4
	s_addc_u32 s4, s7, s3
	s_add_i32 s3, s8, s5
	s_delay_alu instid0(VALU_DEP_1) | instskip(SKIP_1) | instid1(SALU_CYCLE_1)
	v_lshlrev_b64 v[4:5], 3, v[4:5]
	s_lshl_b64 s[2:3], s[2:3], 3
	s_add_u32 s0, s0, s2
	s_addc_u32 s1, s1, s3
	s_delay_alu instid0(VALU_DEP_1) | instskip(NEXT) | instid1(VALU_DEP_2)
	v_add_co_u32 v1, vcc_lo, s0, v4
	v_add_co_ci_u32_e32 v4, vcc_lo, s1, v5, vcc_lo
	s_delay_alu instid0(VALU_DEP_2) | instskip(NEXT) | instid1(VALU_DEP_2)
	v_add_co_u32 v3, vcc_lo, v1, v6
	v_add_co_ci_u32_e32 v4, vcc_lo, v4, v7, vcc_lo
	v_add_nc_u32_e32 v1, -1, v2
	global_load_b64 v[3:4], v[3:4], off
	v_mul_lo_u32 v1, v1, v2
	s_delay_alu instid0(VALU_DEP_1) | instskip(NEXT) | instid1(VALU_DEP_1)
	v_lshrrev_b32_e32 v2, 31, v1
	v_add_nc_u32_e32 v1, v1, v2
	s_delay_alu instid0(VALU_DEP_1) | instskip(NEXT) | instid1(VALU_DEP_1)
	v_ashrrev_i32_e32 v1, 1, v1
	v_add_nc_u32_e32 v0, v1, v0
	s_delay_alu instid0(VALU_DEP_1) | instskip(NEXT) | instid1(VALU_DEP_1)
	v_ashrrev_i32_e32 v1, 31, v0
	v_lshlrev_b64 v[0:1], 3, v[0:1]
	s_delay_alu instid0(VALU_DEP_1) | instskip(NEXT) | instid1(VALU_DEP_2)
	v_add_co_u32 v0, vcc_lo, s6, v0
	v_add_co_ci_u32_e32 v1, vcc_lo, s4, v1, vcc_lo
	s_waitcnt vmcnt(0)
	global_store_b64 v[0:1], v[3:4], off
.LBB4_2:
	s_nop 0
	s_sendmsg sendmsg(MSG_DEALLOC_VGPRS)
	s_endpgm
	.section	.rodata,"a",@progbits
	.p2align	6, 0x0
	.amdhsa_kernel _ZL40rocblas_copy_triangular_syrk_herk_kernelILb1ELb1ELb0EdPdLi16ELi16EEviT3_ilPT2_i
		.amdhsa_group_segment_fixed_size 0
		.amdhsa_private_segment_fixed_size 0
		.amdhsa_kernarg_size 304
		.amdhsa_user_sgpr_count 13
		.amdhsa_user_sgpr_dispatch_ptr 0
		.amdhsa_user_sgpr_queue_ptr 0
		.amdhsa_user_sgpr_kernarg_segment_ptr 1
		.amdhsa_user_sgpr_dispatch_id 0
		.amdhsa_user_sgpr_private_segment_size 0
		.amdhsa_wavefront_size32 1
		.amdhsa_uses_dynamic_stack 0
		.amdhsa_enable_private_segment 0
		.amdhsa_system_sgpr_workgroup_id_x 1
		.amdhsa_system_sgpr_workgroup_id_y 1
		.amdhsa_system_sgpr_workgroup_id_z 1
		.amdhsa_system_sgpr_workgroup_info 0
		.amdhsa_system_vgpr_workitem_id 1
		.amdhsa_next_free_vgpr 8
		.amdhsa_next_free_sgpr 16
		.amdhsa_reserve_vcc 1
		.amdhsa_float_round_mode_32 0
		.amdhsa_float_round_mode_16_64 0
		.amdhsa_float_denorm_mode_32 3
		.amdhsa_float_denorm_mode_16_64 3
		.amdhsa_dx10_clamp 1
		.amdhsa_ieee_mode 1
		.amdhsa_fp16_overflow 0
		.amdhsa_workgroup_processor_mode 1
		.amdhsa_memory_ordered 1
		.amdhsa_forward_progress 0
		.amdhsa_shared_vgpr_count 0
		.amdhsa_exception_fp_ieee_invalid_op 0
		.amdhsa_exception_fp_denorm_src 0
		.amdhsa_exception_fp_ieee_div_zero 0
		.amdhsa_exception_fp_ieee_overflow 0
		.amdhsa_exception_fp_ieee_underflow 0
		.amdhsa_exception_fp_ieee_inexact 0
		.amdhsa_exception_int_div_zero 0
	.end_amdhsa_kernel
	.section	.text._ZL40rocblas_copy_triangular_syrk_herk_kernelILb1ELb1ELb0EdPdLi16ELi16EEviT3_ilPT2_i,"axG",@progbits,_ZL40rocblas_copy_triangular_syrk_herk_kernelILb1ELb1ELb0EdPdLi16ELi16EEviT3_ilPT2_i,comdat
.Lfunc_end4:
	.size	_ZL40rocblas_copy_triangular_syrk_herk_kernelILb1ELb1ELb0EdPdLi16ELi16EEviT3_ilPT2_i, .Lfunc_end4-_ZL40rocblas_copy_triangular_syrk_herk_kernelILb1ELb1ELb0EdPdLi16ELi16EEviT3_ilPT2_i
                                        ; -- End function
	.section	.AMDGPU.csdata,"",@progbits
; Kernel info:
; codeLenInByte = 392
; NumSgprs: 18
; NumVgprs: 8
; ScratchSize: 0
; MemoryBound: 0
; FloatMode: 240
; IeeeMode: 1
; LDSByteSize: 0 bytes/workgroup (compile time only)
; SGPRBlocks: 2
; VGPRBlocks: 0
; NumSGPRsForWavesPerEU: 18
; NumVGPRsForWavesPerEU: 8
; Occupancy: 16
; WaveLimiterHint : 0
; COMPUTE_PGM_RSRC2:SCRATCH_EN: 0
; COMPUTE_PGM_RSRC2:USER_SGPR: 13
; COMPUTE_PGM_RSRC2:TRAP_HANDLER: 0
; COMPUTE_PGM_RSRC2:TGID_X_EN: 1
; COMPUTE_PGM_RSRC2:TGID_Y_EN: 1
; COMPUTE_PGM_RSRC2:TGID_Z_EN: 1
; COMPUTE_PGM_RSRC2:TIDIG_COMP_CNT: 1
	.section	.text._ZL40rocblas_copy_triangular_syrk_herk_kernelILb1ELb0ELb0EdPdLi16ELi16EEviT3_ilPT2_i,"axG",@progbits,_ZL40rocblas_copy_triangular_syrk_herk_kernelILb1ELb0ELb0EdPdLi16ELi16EEviT3_ilPT2_i,comdat
	.globl	_ZL40rocblas_copy_triangular_syrk_herk_kernelILb1ELb0ELb0EdPdLi16ELi16EEviT3_ilPT2_i ; -- Begin function _ZL40rocblas_copy_triangular_syrk_herk_kernelILb1ELb0ELb0EdPdLi16ELi16EEviT3_ilPT2_i
	.p2align	8
	.type	_ZL40rocblas_copy_triangular_syrk_herk_kernelILb1ELb0ELb0EdPdLi16ELi16EEviT3_ilPT2_i,@function
_ZL40rocblas_copy_triangular_syrk_herk_kernelILb1ELb0ELb0EdPdLi16ELi16EEviT3_ilPT2_i: ; @_ZL40rocblas_copy_triangular_syrk_herk_kernelILb1ELb0ELb0EdPdLi16ELi16EEviT3_ilPT2_i
; %bb.0:
	s_clause 0x1
	s_load_b32 s2, s[0:1], 0x3c
	s_load_b32 s3, s[0:1], 0x0
	v_bfe_u32 v1, v0, 10, 10
	v_and_b32_e32 v4, 0x3ff, v0
	s_waitcnt lgkmcnt(0)
	s_lshr_b32 s4, s2, 16
	s_and_b32 s2, s2, 0xffff
	v_mad_u64_u32 v[2:3], null, s14, s4, v[1:2]
	v_mad_u64_u32 v[0:1], null, s13, s2, v[4:5]
	s_delay_alu instid0(VALU_DEP_1) | instskip(SKIP_1) | instid1(VALU_DEP_2)
	v_max_i32_e32 v1, v2, v0
	v_cmp_lt_i32_e64 s2, v2, v0
	v_cmp_gt_i32_e32 vcc_lo, s3, v1
	s_delay_alu instid0(VALU_DEP_2) | instskip(NEXT) | instid1(SALU_CYCLE_1)
	s_and_b32 s2, s2, vcc_lo
	s_and_saveexec_b32 s4, s2
	s_cbranch_execz .LBB5_2
; %bb.1:
	s_clause 0x1
	s_load_b32 s2, s[0:1], 0x10
	s_load_b128 s[4:7], s[0:1], 0x18
	s_add_i32 s8, s3, -1
	s_load_b64 s[0:1], s[0:1], 0x8
	s_mul_hi_i32 s9, s8, s3
	s_mul_i32 s8, s8, s3
	s_lshr_b32 s10, s9, 31
	v_ashrrev_i32_e32 v3, 31, v2
	s_add_u32 s8, s8, s10
	s_addc_u32 s9, s9, 0
	s_delay_alu instid0(SALU_CYCLE_1) | instskip(NEXT) | instid1(VALU_DEP_1)
	s_ashr_i64 s[8:9], s[8:9], 1
	v_lshlrev_b64 v[6:7], 3, v[2:3]
	s_mul_i32 s9, s9, s15
	s_mul_hi_u32 s10, s8, s15
	s_mul_i32 s8, s8, s15
	s_add_i32 s9, s10, s9
	s_delay_alu instid0(SALU_CYCLE_1)
	s_lshl_b64 s[8:9], s[8:9], 3
	s_waitcnt lgkmcnt(0)
	v_mad_i64_i32 v[4:5], null, v0, s2, 0
	s_add_u32 s2, s6, s8
	s_mul_i32 s5, s15, s5
	s_mul_hi_u32 s6, s15, s4
	s_mul_i32 s4, s15, s4
	s_addc_u32 s7, s7, s9
	s_add_i32 s5, s6, s5
	s_delay_alu instid0(VALU_DEP_1) | instskip(SKIP_1) | instid1(SALU_CYCLE_1)
	v_lshlrev_b64 v[4:5], 3, v[4:5]
	s_lshl_b64 s[4:5], s[4:5], 3
	s_add_u32 s0, s0, s4
	s_addc_u32 s1, s1, s5
	s_delay_alu instid0(VALU_DEP_1) | instskip(NEXT) | instid1(VALU_DEP_2)
	v_add_co_u32 v1, vcc_lo, s0, v4
	v_add_co_ci_u32_e32 v4, vcc_lo, s1, v5, vcc_lo
	s_delay_alu instid0(VALU_DEP_2) | instskip(NEXT) | instid1(VALU_DEP_2)
	v_add_co_u32 v3, vcc_lo, v1, v6
	v_add_co_ci_u32_e32 v4, vcc_lo, v4, v7, vcc_lo
	v_not_b32_e32 v1, v2
	global_load_b64 v[3:4], v[3:4], off
	v_lshl_add_u32 v5, s3, 1, v1
	s_delay_alu instid0(VALU_DEP_1) | instskip(NEXT) | instid1(VALU_DEP_1)
	v_mul_lo_u32 v2, v5, v2
	v_lshrrev_b32_e32 v5, 31, v2
	s_delay_alu instid0(VALU_DEP_1) | instskip(NEXT) | instid1(VALU_DEP_1)
	v_add_nc_u32_e32 v2, v2, v5
	v_ashrrev_i32_e32 v2, 1, v2
	s_delay_alu instid0(VALU_DEP_1) | instskip(NEXT) | instid1(VALU_DEP_1)
	v_add3_u32 v0, v0, v1, v2
	v_ashrrev_i32_e32 v1, 31, v0
	s_delay_alu instid0(VALU_DEP_1) | instskip(NEXT) | instid1(VALU_DEP_1)
	v_lshlrev_b64 v[0:1], 3, v[0:1]
	v_add_co_u32 v0, vcc_lo, s2, v0
	s_delay_alu instid0(VALU_DEP_2)
	v_add_co_ci_u32_e32 v1, vcc_lo, s7, v1, vcc_lo
	s_waitcnt vmcnt(0)
	global_store_b64 v[0:1], v[3:4], off
.LBB5_2:
	s_nop 0
	s_sendmsg sendmsg(MSG_DEALLOC_VGPRS)
	s_endpgm
	.section	.rodata,"a",@progbits
	.p2align	6, 0x0
	.amdhsa_kernel _ZL40rocblas_copy_triangular_syrk_herk_kernelILb1ELb0ELb0EdPdLi16ELi16EEviT3_ilPT2_i
		.amdhsa_group_segment_fixed_size 0
		.amdhsa_private_segment_fixed_size 0
		.amdhsa_kernarg_size 304
		.amdhsa_user_sgpr_count 13
		.amdhsa_user_sgpr_dispatch_ptr 0
		.amdhsa_user_sgpr_queue_ptr 0
		.amdhsa_user_sgpr_kernarg_segment_ptr 1
		.amdhsa_user_sgpr_dispatch_id 0
		.amdhsa_user_sgpr_private_segment_size 0
		.amdhsa_wavefront_size32 1
		.amdhsa_uses_dynamic_stack 0
		.amdhsa_enable_private_segment 0
		.amdhsa_system_sgpr_workgroup_id_x 1
		.amdhsa_system_sgpr_workgroup_id_y 1
		.amdhsa_system_sgpr_workgroup_id_z 1
		.amdhsa_system_sgpr_workgroup_info 0
		.amdhsa_system_vgpr_workitem_id 1
		.amdhsa_next_free_vgpr 8
		.amdhsa_next_free_sgpr 16
		.amdhsa_reserve_vcc 1
		.amdhsa_float_round_mode_32 0
		.amdhsa_float_round_mode_16_64 0
		.amdhsa_float_denorm_mode_32 3
		.amdhsa_float_denorm_mode_16_64 3
		.amdhsa_dx10_clamp 1
		.amdhsa_ieee_mode 1
		.amdhsa_fp16_overflow 0
		.amdhsa_workgroup_processor_mode 1
		.amdhsa_memory_ordered 1
		.amdhsa_forward_progress 0
		.amdhsa_shared_vgpr_count 0
		.amdhsa_exception_fp_ieee_invalid_op 0
		.amdhsa_exception_fp_denorm_src 0
		.amdhsa_exception_fp_ieee_div_zero 0
		.amdhsa_exception_fp_ieee_overflow 0
		.amdhsa_exception_fp_ieee_underflow 0
		.amdhsa_exception_fp_ieee_inexact 0
		.amdhsa_exception_int_div_zero 0
	.end_amdhsa_kernel
	.section	.text._ZL40rocblas_copy_triangular_syrk_herk_kernelILb1ELb0ELb0EdPdLi16ELi16EEviT3_ilPT2_i,"axG",@progbits,_ZL40rocblas_copy_triangular_syrk_herk_kernelILb1ELb0ELb0EdPdLi16ELi16EEviT3_ilPT2_i,comdat
.Lfunc_end5:
	.size	_ZL40rocblas_copy_triangular_syrk_herk_kernelILb1ELb0ELb0EdPdLi16ELi16EEviT3_ilPT2_i, .Lfunc_end5-_ZL40rocblas_copy_triangular_syrk_herk_kernelILb1ELb0ELb0EdPdLi16ELi16EEviT3_ilPT2_i
                                        ; -- End function
	.section	.AMDGPU.csdata,"",@progbits
; Kernel info:
; codeLenInByte = 408
; NumSgprs: 18
; NumVgprs: 8
; ScratchSize: 0
; MemoryBound: 0
; FloatMode: 240
; IeeeMode: 1
; LDSByteSize: 0 bytes/workgroup (compile time only)
; SGPRBlocks: 2
; VGPRBlocks: 0
; NumSGPRsForWavesPerEU: 18
; NumVGPRsForWavesPerEU: 8
; Occupancy: 16
; WaveLimiterHint : 0
; COMPUTE_PGM_RSRC2:SCRATCH_EN: 0
; COMPUTE_PGM_RSRC2:USER_SGPR: 13
; COMPUTE_PGM_RSRC2:TRAP_HANDLER: 0
; COMPUTE_PGM_RSRC2:TGID_X_EN: 1
; COMPUTE_PGM_RSRC2:TGID_Y_EN: 1
; COMPUTE_PGM_RSRC2:TGID_Z_EN: 1
; COMPUTE_PGM_RSRC2:TIDIG_COMP_CNT: 1
	.section	.text._ZL40rocblas_copy_triangular_syrk_herk_kernelILb0ELb1ELb0EdPdLi16ELi16EEviT3_ilPT2_i,"axG",@progbits,_ZL40rocblas_copy_triangular_syrk_herk_kernelILb0ELb1ELb0EdPdLi16ELi16EEviT3_ilPT2_i,comdat
	.globl	_ZL40rocblas_copy_triangular_syrk_herk_kernelILb0ELb1ELb0EdPdLi16ELi16EEviT3_ilPT2_i ; -- Begin function _ZL40rocblas_copy_triangular_syrk_herk_kernelILb0ELb1ELb0EdPdLi16ELi16EEviT3_ilPT2_i
	.p2align	8
	.type	_ZL40rocblas_copy_triangular_syrk_herk_kernelILb0ELb1ELb0EdPdLi16ELi16EEviT3_ilPT2_i,@function
_ZL40rocblas_copy_triangular_syrk_herk_kernelILb0ELb1ELb0EdPdLi16ELi16EEviT3_ilPT2_i: ; @_ZL40rocblas_copy_triangular_syrk_herk_kernelILb0ELb1ELb0EdPdLi16ELi16EEviT3_ilPT2_i
; %bb.0:
	s_clause 0x1
	s_load_b32 s2, s[0:1], 0x3c
	s_load_b32 s3, s[0:1], 0x0
	v_bfe_u32 v2, v0, 10, 10
	v_and_b32_e32 v3, 0x3ff, v0
	s_waitcnt lgkmcnt(0)
	s_lshr_b32 s4, s2, 16
	s_and_b32 s2, s2, 0xffff
	s_delay_alu instid0(VALU_DEP_1) | instskip(SKIP_1) | instid1(VALU_DEP_1)
	v_mad_u64_u32 v[0:1], null, s14, s4, v[2:3]
	v_mad_u64_u32 v[1:2], null, s13, s2, v[3:4]
	v_max_i32_e32 v2, v0, v1
	v_cmp_gt_i32_e64 s2, v0, v1
	s_delay_alu instid0(VALU_DEP_2) | instskip(NEXT) | instid1(VALU_DEP_2)
	v_cmp_gt_i32_e32 vcc_lo, s3, v2
	s_and_b32 s2, s2, vcc_lo
	s_delay_alu instid0(SALU_CYCLE_1)
	s_and_saveexec_b32 s4, s2
	s_cbranch_execz .LBB6_2
; %bb.1:
	v_add_nc_u32_e32 v2, -1, v0
	s_load_b128 s[4:7], s[0:1], 0x18
	s_add_i32 s2, s3, -1
	s_delay_alu instid0(SALU_CYCLE_1) | instskip(NEXT) | instid1(VALU_DEP_1)
	s_mul_hi_i32 s8, s2, s3
	v_mul_lo_u32 v2, v2, v0
	s_mul_i32 s2, s2, s3
	s_lshr_b32 s3, s8, 31
	s_delay_alu instid0(SALU_CYCLE_1) | instskip(SKIP_1) | instid1(SALU_CYCLE_1)
	s_add_u32 s2, s2, s3
	s_addc_u32 s3, s8, 0
	s_ashr_i64 s[2:3], s[2:3], 1
	s_delay_alu instid0(VALU_DEP_1)
	v_lshrrev_b32_e32 v3, 31, v2
	s_mul_i32 s3, s3, s15
	s_mul_hi_u32 s8, s2, s15
	s_mul_i32 s2, s2, s15
	s_add_i32 s3, s8, s3
	v_add_nc_u32_e32 v2, v2, v3
	s_lshl_b64 s[2:3], s[2:3], 3
	s_waitcnt lgkmcnt(0)
	s_add_u32 s2, s6, s2
	s_addc_u32 s3, s7, s3
	v_ashrrev_i32_e32 v2, 1, v2
	s_delay_alu instid0(VALU_DEP_1) | instskip(NEXT) | instid1(VALU_DEP_1)
	v_add_nc_u32_e32 v2, v2, v1
	v_ashrrev_i32_e32 v3, 31, v2
	s_delay_alu instid0(VALU_DEP_1) | instskip(NEXT) | instid1(VALU_DEP_1)
	v_lshlrev_b64 v[2:3], 3, v[2:3]
	v_add_co_u32 v2, vcc_lo, s2, v2
	s_delay_alu instid0(VALU_DEP_2)
	v_add_co_ci_u32_e32 v3, vcc_lo, s3, v3, vcc_lo
	s_mul_i32 s3, s15, s5
	global_load_b64 v[2:3], v[2:3], off
	s_clause 0x1
	s_load_b32 s2, s[0:1], 0x10
	s_load_b64 s[0:1], s[0:1], 0x8
	s_waitcnt lgkmcnt(0)
	v_mad_i64_i32 v[4:5], null, v1, s2, 0
	s_mul_hi_u32 s2, s15, s4
	v_ashrrev_i32_e32 v1, 31, v0
	s_add_i32 s3, s2, s3
	s_mul_i32 s2, s15, s4
	s_delay_alu instid0(SALU_CYCLE_1) | instskip(NEXT) | instid1(VALU_DEP_2)
	s_lshl_b64 s[2:3], s[2:3], 3
	v_lshlrev_b64 v[4:5], 3, v[4:5]
	s_add_u32 s0, s0, s2
	v_lshlrev_b64 v[0:1], 3, v[0:1]
	s_addc_u32 s1, s1, s3
	s_delay_alu instid0(VALU_DEP_2) | instskip(NEXT) | instid1(VALU_DEP_3)
	v_add_co_u32 v4, vcc_lo, s0, v4
	v_add_co_ci_u32_e32 v5, vcc_lo, s1, v5, vcc_lo
	s_delay_alu instid0(VALU_DEP_2) | instskip(NEXT) | instid1(VALU_DEP_2)
	v_add_co_u32 v0, vcc_lo, v4, v0
	v_add_co_ci_u32_e32 v1, vcc_lo, v5, v1, vcc_lo
	s_waitcnt vmcnt(0)
	global_store_b64 v[0:1], v[2:3], off
.LBB6_2:
	s_nop 0
	s_sendmsg sendmsg(MSG_DEALLOC_VGPRS)
	s_endpgm
	.section	.rodata,"a",@progbits
	.p2align	6, 0x0
	.amdhsa_kernel _ZL40rocblas_copy_triangular_syrk_herk_kernelILb0ELb1ELb0EdPdLi16ELi16EEviT3_ilPT2_i
		.amdhsa_group_segment_fixed_size 0
		.amdhsa_private_segment_fixed_size 0
		.amdhsa_kernarg_size 304
		.amdhsa_user_sgpr_count 13
		.amdhsa_user_sgpr_dispatch_ptr 0
		.amdhsa_user_sgpr_queue_ptr 0
		.amdhsa_user_sgpr_kernarg_segment_ptr 1
		.amdhsa_user_sgpr_dispatch_id 0
		.amdhsa_user_sgpr_private_segment_size 0
		.amdhsa_wavefront_size32 1
		.amdhsa_uses_dynamic_stack 0
		.amdhsa_enable_private_segment 0
		.amdhsa_system_sgpr_workgroup_id_x 1
		.amdhsa_system_sgpr_workgroup_id_y 1
		.amdhsa_system_sgpr_workgroup_id_z 1
		.amdhsa_system_sgpr_workgroup_info 0
		.amdhsa_system_vgpr_workitem_id 1
		.amdhsa_next_free_vgpr 6
		.amdhsa_next_free_sgpr 16
		.amdhsa_reserve_vcc 1
		.amdhsa_float_round_mode_32 0
		.amdhsa_float_round_mode_16_64 0
		.amdhsa_float_denorm_mode_32 3
		.amdhsa_float_denorm_mode_16_64 3
		.amdhsa_dx10_clamp 1
		.amdhsa_ieee_mode 1
		.amdhsa_fp16_overflow 0
		.amdhsa_workgroup_processor_mode 1
		.amdhsa_memory_ordered 1
		.amdhsa_forward_progress 0
		.amdhsa_shared_vgpr_count 0
		.amdhsa_exception_fp_ieee_invalid_op 0
		.amdhsa_exception_fp_denorm_src 0
		.amdhsa_exception_fp_ieee_div_zero 0
		.amdhsa_exception_fp_ieee_overflow 0
		.amdhsa_exception_fp_ieee_underflow 0
		.amdhsa_exception_fp_ieee_inexact 0
		.amdhsa_exception_int_div_zero 0
	.end_amdhsa_kernel
	.section	.text._ZL40rocblas_copy_triangular_syrk_herk_kernelILb0ELb1ELb0EdPdLi16ELi16EEviT3_ilPT2_i,"axG",@progbits,_ZL40rocblas_copy_triangular_syrk_herk_kernelILb0ELb1ELb0EdPdLi16ELi16EEviT3_ilPT2_i,comdat
.Lfunc_end6:
	.size	_ZL40rocblas_copy_triangular_syrk_herk_kernelILb0ELb1ELb0EdPdLi16ELi16EEviT3_ilPT2_i, .Lfunc_end6-_ZL40rocblas_copy_triangular_syrk_herk_kernelILb0ELb1ELb0EdPdLi16ELi16EEviT3_ilPT2_i
                                        ; -- End function
	.section	.AMDGPU.csdata,"",@progbits
; Kernel info:
; codeLenInByte = 400
; NumSgprs: 18
; NumVgprs: 6
; ScratchSize: 0
; MemoryBound: 0
; FloatMode: 240
; IeeeMode: 1
; LDSByteSize: 0 bytes/workgroup (compile time only)
; SGPRBlocks: 2
; VGPRBlocks: 0
; NumSGPRsForWavesPerEU: 18
; NumVGPRsForWavesPerEU: 6
; Occupancy: 16
; WaveLimiterHint : 0
; COMPUTE_PGM_RSRC2:SCRATCH_EN: 0
; COMPUTE_PGM_RSRC2:USER_SGPR: 13
; COMPUTE_PGM_RSRC2:TRAP_HANDLER: 0
; COMPUTE_PGM_RSRC2:TGID_X_EN: 1
; COMPUTE_PGM_RSRC2:TGID_Y_EN: 1
; COMPUTE_PGM_RSRC2:TGID_Z_EN: 1
; COMPUTE_PGM_RSRC2:TIDIG_COMP_CNT: 1
	.section	.text._ZL40rocblas_copy_triangular_syrk_herk_kernelILb0ELb0ELb0EdPdLi16ELi16EEviT3_ilPT2_i,"axG",@progbits,_ZL40rocblas_copy_triangular_syrk_herk_kernelILb0ELb0ELb0EdPdLi16ELi16EEviT3_ilPT2_i,comdat
	.globl	_ZL40rocblas_copy_triangular_syrk_herk_kernelILb0ELb0ELb0EdPdLi16ELi16EEviT3_ilPT2_i ; -- Begin function _ZL40rocblas_copy_triangular_syrk_herk_kernelILb0ELb0ELb0EdPdLi16ELi16EEviT3_ilPT2_i
	.p2align	8
	.type	_ZL40rocblas_copy_triangular_syrk_herk_kernelILb0ELb0ELb0EdPdLi16ELi16EEviT3_ilPT2_i,@function
_ZL40rocblas_copy_triangular_syrk_herk_kernelILb0ELb0ELb0EdPdLi16ELi16EEviT3_ilPT2_i: ; @_ZL40rocblas_copy_triangular_syrk_herk_kernelILb0ELb0ELb0EdPdLi16ELi16EEviT3_ilPT2_i
; %bb.0:
	s_clause 0x1
	s_load_b32 s2, s[0:1], 0x3c
	s_load_b32 s3, s[0:1], 0x0
	v_bfe_u32 v2, v0, 10, 10
	v_and_b32_e32 v3, 0x3ff, v0
	s_waitcnt lgkmcnt(0)
	s_lshr_b32 s4, s2, 16
	s_and_b32 s2, s2, 0xffff
	s_delay_alu instid0(VALU_DEP_1) | instskip(SKIP_1) | instid1(VALU_DEP_1)
	v_mad_u64_u32 v[0:1], null, s14, s4, v[2:3]
	v_mad_u64_u32 v[1:2], null, s13, s2, v[3:4]
	v_max_i32_e32 v2, v0, v1
	v_cmp_lt_i32_e64 s2, v0, v1
	s_delay_alu instid0(VALU_DEP_2) | instskip(NEXT) | instid1(VALU_DEP_2)
	v_cmp_gt_i32_e32 vcc_lo, s3, v2
	s_and_b32 s2, s2, vcc_lo
	s_delay_alu instid0(SALU_CYCLE_1)
	s_and_saveexec_b32 s4, s2
	s_cbranch_execz .LBB7_2
; %bb.1:
	v_not_b32_e32 v2, v0
	s_load_b128 s[4:7], s[0:1], 0x18
	s_add_i32 s2, s3, -1
	s_delay_alu instid0(SALU_CYCLE_1) | instskip(NEXT) | instid1(VALU_DEP_1)
	s_mul_hi_i32 s8, s2, s3
	v_lshl_add_u32 v3, s3, 1, v2
	s_mul_i32 s2, s2, s3
	s_lshr_b32 s3, s8, 31
	s_delay_alu instid0(SALU_CYCLE_1) | instskip(NEXT) | instid1(VALU_DEP_1)
	s_add_u32 s2, s2, s3
	v_mul_lo_u32 v3, v3, v0
	s_addc_u32 s3, s8, 0
	s_delay_alu instid0(SALU_CYCLE_1) | instskip(NEXT) | instid1(SALU_CYCLE_1)
	s_ashr_i64 s[2:3], s[2:3], 1
	s_mul_i32 s3, s3, s15
	s_mul_hi_u32 s8, s2, s15
	s_mul_i32 s2, s2, s15
	s_delay_alu instid0(VALU_DEP_1) | instskip(SKIP_1) | instid1(SALU_CYCLE_1)
	v_lshrrev_b32_e32 v4, 31, v3
	s_add_i32 s3, s8, s3
	s_lshl_b64 s[2:3], s[2:3], 3
	s_waitcnt lgkmcnt(0)
	s_add_u32 s2, s6, s2
	v_add_nc_u32_e32 v3, v3, v4
	s_addc_u32 s3, s7, s3
	s_delay_alu instid0(VALU_DEP_1) | instskip(NEXT) | instid1(VALU_DEP_1)
	v_ashrrev_i32_e32 v3, 1, v3
	v_add3_u32 v2, v1, v2, v3
	s_delay_alu instid0(VALU_DEP_1) | instskip(NEXT) | instid1(VALU_DEP_1)
	v_ashrrev_i32_e32 v3, 31, v2
	v_lshlrev_b64 v[2:3], 3, v[2:3]
	s_delay_alu instid0(VALU_DEP_1) | instskip(NEXT) | instid1(VALU_DEP_2)
	v_add_co_u32 v2, vcc_lo, s2, v2
	v_add_co_ci_u32_e32 v3, vcc_lo, s3, v3, vcc_lo
	s_mul_i32 s3, s15, s5
	global_load_b64 v[2:3], v[2:3], off
	s_clause 0x1
	s_load_b32 s2, s[0:1], 0x10
	s_load_b64 s[0:1], s[0:1], 0x8
	s_waitcnt lgkmcnt(0)
	v_mad_i64_i32 v[4:5], null, v1, s2, 0
	s_mul_hi_u32 s2, s15, s4
	v_ashrrev_i32_e32 v1, 31, v0
	s_add_i32 s3, s2, s3
	s_mul_i32 s2, s15, s4
	s_delay_alu instid0(SALU_CYCLE_1) | instskip(NEXT) | instid1(VALU_DEP_2)
	s_lshl_b64 s[2:3], s[2:3], 3
	v_lshlrev_b64 v[4:5], 3, v[4:5]
	s_add_u32 s0, s0, s2
	v_lshlrev_b64 v[0:1], 3, v[0:1]
	s_addc_u32 s1, s1, s3
	s_delay_alu instid0(VALU_DEP_2) | instskip(NEXT) | instid1(VALU_DEP_3)
	v_add_co_u32 v4, vcc_lo, s0, v4
	v_add_co_ci_u32_e32 v5, vcc_lo, s1, v5, vcc_lo
	s_delay_alu instid0(VALU_DEP_2) | instskip(NEXT) | instid1(VALU_DEP_2)
	v_add_co_u32 v0, vcc_lo, v4, v0
	v_add_co_ci_u32_e32 v1, vcc_lo, v5, v1, vcc_lo
	s_waitcnt vmcnt(0)
	global_store_b64 v[0:1], v[2:3], off
.LBB7_2:
	s_nop 0
	s_sendmsg sendmsg(MSG_DEALLOC_VGPRS)
	s_endpgm
	.section	.rodata,"a",@progbits
	.p2align	6, 0x0
	.amdhsa_kernel _ZL40rocblas_copy_triangular_syrk_herk_kernelILb0ELb0ELb0EdPdLi16ELi16EEviT3_ilPT2_i
		.amdhsa_group_segment_fixed_size 0
		.amdhsa_private_segment_fixed_size 0
		.amdhsa_kernarg_size 304
		.amdhsa_user_sgpr_count 13
		.amdhsa_user_sgpr_dispatch_ptr 0
		.amdhsa_user_sgpr_queue_ptr 0
		.amdhsa_user_sgpr_kernarg_segment_ptr 1
		.amdhsa_user_sgpr_dispatch_id 0
		.amdhsa_user_sgpr_private_segment_size 0
		.amdhsa_wavefront_size32 1
		.amdhsa_uses_dynamic_stack 0
		.amdhsa_enable_private_segment 0
		.amdhsa_system_sgpr_workgroup_id_x 1
		.amdhsa_system_sgpr_workgroup_id_y 1
		.amdhsa_system_sgpr_workgroup_id_z 1
		.amdhsa_system_sgpr_workgroup_info 0
		.amdhsa_system_vgpr_workitem_id 1
		.amdhsa_next_free_vgpr 6
		.amdhsa_next_free_sgpr 16
		.amdhsa_reserve_vcc 1
		.amdhsa_float_round_mode_32 0
		.amdhsa_float_round_mode_16_64 0
		.amdhsa_float_denorm_mode_32 3
		.amdhsa_float_denorm_mode_16_64 3
		.amdhsa_dx10_clamp 1
		.amdhsa_ieee_mode 1
		.amdhsa_fp16_overflow 0
		.amdhsa_workgroup_processor_mode 1
		.amdhsa_memory_ordered 1
		.amdhsa_forward_progress 0
		.amdhsa_shared_vgpr_count 0
		.amdhsa_exception_fp_ieee_invalid_op 0
		.amdhsa_exception_fp_denorm_src 0
		.amdhsa_exception_fp_ieee_div_zero 0
		.amdhsa_exception_fp_ieee_overflow 0
		.amdhsa_exception_fp_ieee_underflow 0
		.amdhsa_exception_fp_ieee_inexact 0
		.amdhsa_exception_int_div_zero 0
	.end_amdhsa_kernel
	.section	.text._ZL40rocblas_copy_triangular_syrk_herk_kernelILb0ELb0ELb0EdPdLi16ELi16EEviT3_ilPT2_i,"axG",@progbits,_ZL40rocblas_copy_triangular_syrk_herk_kernelILb0ELb0ELb0EdPdLi16ELi16EEviT3_ilPT2_i,comdat
.Lfunc_end7:
	.size	_ZL40rocblas_copy_triangular_syrk_herk_kernelILb0ELb0ELb0EdPdLi16ELi16EEviT3_ilPT2_i, .Lfunc_end7-_ZL40rocblas_copy_triangular_syrk_herk_kernelILb0ELb0ELb0EdPdLi16ELi16EEviT3_ilPT2_i
                                        ; -- End function
	.section	.AMDGPU.csdata,"",@progbits
; Kernel info:
; codeLenInByte = 416
; NumSgprs: 18
; NumVgprs: 6
; ScratchSize: 0
; MemoryBound: 0
; FloatMode: 240
; IeeeMode: 1
; LDSByteSize: 0 bytes/workgroup (compile time only)
; SGPRBlocks: 2
; VGPRBlocks: 0
; NumSGPRsForWavesPerEU: 18
; NumVGPRsForWavesPerEU: 6
; Occupancy: 16
; WaveLimiterHint : 0
; COMPUTE_PGM_RSRC2:SCRATCH_EN: 0
; COMPUTE_PGM_RSRC2:USER_SGPR: 13
; COMPUTE_PGM_RSRC2:TRAP_HANDLER: 0
; COMPUTE_PGM_RSRC2:TGID_X_EN: 1
; COMPUTE_PGM_RSRC2:TGID_Y_EN: 1
; COMPUTE_PGM_RSRC2:TGID_Z_EN: 1
; COMPUTE_PGM_RSRC2:TIDIG_COMP_CNT: 1
	.section	.text._ZL40rocblas_copy_triangular_syrk_herk_kernelILb1ELb1ELb0E19rocblas_complex_numIfEPS1_Li16ELi16EEviT3_ilPT2_i,"axG",@progbits,_ZL40rocblas_copy_triangular_syrk_herk_kernelILb1ELb1ELb0E19rocblas_complex_numIfEPS1_Li16ELi16EEviT3_ilPT2_i,comdat
	.globl	_ZL40rocblas_copy_triangular_syrk_herk_kernelILb1ELb1ELb0E19rocblas_complex_numIfEPS1_Li16ELi16EEviT3_ilPT2_i ; -- Begin function _ZL40rocblas_copy_triangular_syrk_herk_kernelILb1ELb1ELb0E19rocblas_complex_numIfEPS1_Li16ELi16EEviT3_ilPT2_i
	.p2align	8
	.type	_ZL40rocblas_copy_triangular_syrk_herk_kernelILb1ELb1ELb0E19rocblas_complex_numIfEPS1_Li16ELi16EEviT3_ilPT2_i,@function
_ZL40rocblas_copy_triangular_syrk_herk_kernelILb1ELb1ELb0E19rocblas_complex_numIfEPS1_Li16ELi16EEviT3_ilPT2_i: ; @_ZL40rocblas_copy_triangular_syrk_herk_kernelILb1ELb1ELb0E19rocblas_complex_numIfEPS1_Li16ELi16EEviT3_ilPT2_i
; %bb.0:
	s_clause 0x1
	s_load_b32 s2, s[0:1], 0x3c
	s_load_b32 s3, s[0:1], 0x0
	v_bfe_u32 v1, v0, 10, 10
	v_and_b32_e32 v4, 0x3ff, v0
	s_waitcnt lgkmcnt(0)
	s_lshr_b32 s4, s2, 16
	s_and_b32 s2, s2, 0xffff
	v_mad_u64_u32 v[2:3], null, s14, s4, v[1:2]
	v_mad_u64_u32 v[0:1], null, s13, s2, v[4:5]
	s_delay_alu instid0(VALU_DEP_1) | instskip(SKIP_1) | instid1(VALU_DEP_2)
	v_max_i32_e32 v1, v2, v0
	v_cmp_gt_i32_e64 s2, v2, v0
	v_cmp_gt_i32_e32 vcc_lo, s3, v1
	s_delay_alu instid0(VALU_DEP_2) | instskip(NEXT) | instid1(SALU_CYCLE_1)
	s_and_b32 s2, s2, vcc_lo
	s_and_saveexec_b32 s4, s2
	s_cbranch_execz .LBB8_2
; %bb.1:
	s_clause 0x1
	s_load_b32 s8, s[0:1], 0x10
	s_load_b128 s[4:7], s[0:1], 0x18
	s_add_i32 s2, s3, -1
	s_load_b64 s[0:1], s[0:1], 0x8
	s_mul_hi_i32 s9, s2, s3
	s_mul_i32 s2, s2, s3
	s_lshr_b32 s3, s9, 31
	v_ashrrev_i32_e32 v3, 31, v2
	s_add_u32 s2, s2, s3
	s_addc_u32 s3, s9, 0
	s_delay_alu instid0(SALU_CYCLE_1) | instskip(NEXT) | instid1(VALU_DEP_1)
	s_ashr_i64 s[2:3], s[2:3], 1
	v_lshlrev_b64 v[6:7], 3, v[2:3]
	s_mul_i32 s3, s3, s15
	s_mul_hi_u32 s9, s2, s15
	s_mul_i32 s2, s2, s15
	s_add_i32 s3, s9, s3
	s_delay_alu instid0(SALU_CYCLE_1)
	s_lshl_b64 s[2:3], s[2:3], 3
	s_waitcnt lgkmcnt(0)
	v_mad_i64_i32 v[4:5], null, v0, s8, 0
	s_mul_i32 s5, s15, s5
	s_mul_hi_u32 s8, s15, s4
	s_add_u32 s6, s6, s2
	s_mul_i32 s2, s15, s4
	s_addc_u32 s4, s7, s3
	s_add_i32 s3, s8, s5
	s_delay_alu instid0(VALU_DEP_1) | instskip(SKIP_1) | instid1(SALU_CYCLE_1)
	v_lshlrev_b64 v[4:5], 3, v[4:5]
	s_lshl_b64 s[2:3], s[2:3], 3
	s_add_u32 s0, s0, s2
	s_addc_u32 s1, s1, s3
	s_delay_alu instid0(VALU_DEP_1) | instskip(NEXT) | instid1(VALU_DEP_2)
	v_add_co_u32 v1, vcc_lo, s0, v4
	v_add_co_ci_u32_e32 v4, vcc_lo, s1, v5, vcc_lo
	s_delay_alu instid0(VALU_DEP_2) | instskip(NEXT) | instid1(VALU_DEP_2)
	v_add_co_u32 v3, vcc_lo, v1, v6
	v_add_co_ci_u32_e32 v4, vcc_lo, v4, v7, vcc_lo
	v_add_nc_u32_e32 v1, -1, v2
	global_load_b64 v[3:4], v[3:4], off
	v_mul_lo_u32 v1, v1, v2
	s_delay_alu instid0(VALU_DEP_1) | instskip(NEXT) | instid1(VALU_DEP_1)
	v_lshrrev_b32_e32 v2, 31, v1
	v_add_nc_u32_e32 v1, v1, v2
	s_delay_alu instid0(VALU_DEP_1) | instskip(NEXT) | instid1(VALU_DEP_1)
	v_ashrrev_i32_e32 v1, 1, v1
	v_add_nc_u32_e32 v0, v1, v0
	s_delay_alu instid0(VALU_DEP_1) | instskip(NEXT) | instid1(VALU_DEP_1)
	v_ashrrev_i32_e32 v1, 31, v0
	v_lshlrev_b64 v[0:1], 3, v[0:1]
	s_delay_alu instid0(VALU_DEP_1) | instskip(NEXT) | instid1(VALU_DEP_2)
	v_add_co_u32 v0, vcc_lo, s6, v0
	v_add_co_ci_u32_e32 v1, vcc_lo, s4, v1, vcc_lo
	s_waitcnt vmcnt(0)
	global_store_b64 v[0:1], v[3:4], off
.LBB8_2:
	s_nop 0
	s_sendmsg sendmsg(MSG_DEALLOC_VGPRS)
	s_endpgm
	.section	.rodata,"a",@progbits
	.p2align	6, 0x0
	.amdhsa_kernel _ZL40rocblas_copy_triangular_syrk_herk_kernelILb1ELb1ELb0E19rocblas_complex_numIfEPS1_Li16ELi16EEviT3_ilPT2_i
		.amdhsa_group_segment_fixed_size 0
		.amdhsa_private_segment_fixed_size 0
		.amdhsa_kernarg_size 304
		.amdhsa_user_sgpr_count 13
		.amdhsa_user_sgpr_dispatch_ptr 0
		.amdhsa_user_sgpr_queue_ptr 0
		.amdhsa_user_sgpr_kernarg_segment_ptr 1
		.amdhsa_user_sgpr_dispatch_id 0
		.amdhsa_user_sgpr_private_segment_size 0
		.amdhsa_wavefront_size32 1
		.amdhsa_uses_dynamic_stack 0
		.amdhsa_enable_private_segment 0
		.amdhsa_system_sgpr_workgroup_id_x 1
		.amdhsa_system_sgpr_workgroup_id_y 1
		.amdhsa_system_sgpr_workgroup_id_z 1
		.amdhsa_system_sgpr_workgroup_info 0
		.amdhsa_system_vgpr_workitem_id 1
		.amdhsa_next_free_vgpr 8
		.amdhsa_next_free_sgpr 16
		.amdhsa_reserve_vcc 1
		.amdhsa_float_round_mode_32 0
		.amdhsa_float_round_mode_16_64 0
		.amdhsa_float_denorm_mode_32 3
		.amdhsa_float_denorm_mode_16_64 3
		.amdhsa_dx10_clamp 1
		.amdhsa_ieee_mode 1
		.amdhsa_fp16_overflow 0
		.amdhsa_workgroup_processor_mode 1
		.amdhsa_memory_ordered 1
		.amdhsa_forward_progress 0
		.amdhsa_shared_vgpr_count 0
		.amdhsa_exception_fp_ieee_invalid_op 0
		.amdhsa_exception_fp_denorm_src 0
		.amdhsa_exception_fp_ieee_div_zero 0
		.amdhsa_exception_fp_ieee_overflow 0
		.amdhsa_exception_fp_ieee_underflow 0
		.amdhsa_exception_fp_ieee_inexact 0
		.amdhsa_exception_int_div_zero 0
	.end_amdhsa_kernel
	.section	.text._ZL40rocblas_copy_triangular_syrk_herk_kernelILb1ELb1ELb0E19rocblas_complex_numIfEPS1_Li16ELi16EEviT3_ilPT2_i,"axG",@progbits,_ZL40rocblas_copy_triangular_syrk_herk_kernelILb1ELb1ELb0E19rocblas_complex_numIfEPS1_Li16ELi16EEviT3_ilPT2_i,comdat
.Lfunc_end8:
	.size	_ZL40rocblas_copy_triangular_syrk_herk_kernelILb1ELb1ELb0E19rocblas_complex_numIfEPS1_Li16ELi16EEviT3_ilPT2_i, .Lfunc_end8-_ZL40rocblas_copy_triangular_syrk_herk_kernelILb1ELb1ELb0E19rocblas_complex_numIfEPS1_Li16ELi16EEviT3_ilPT2_i
                                        ; -- End function
	.section	.AMDGPU.csdata,"",@progbits
; Kernel info:
; codeLenInByte = 392
; NumSgprs: 18
; NumVgprs: 8
; ScratchSize: 0
; MemoryBound: 0
; FloatMode: 240
; IeeeMode: 1
; LDSByteSize: 0 bytes/workgroup (compile time only)
; SGPRBlocks: 2
; VGPRBlocks: 0
; NumSGPRsForWavesPerEU: 18
; NumVGPRsForWavesPerEU: 8
; Occupancy: 16
; WaveLimiterHint : 0
; COMPUTE_PGM_RSRC2:SCRATCH_EN: 0
; COMPUTE_PGM_RSRC2:USER_SGPR: 13
; COMPUTE_PGM_RSRC2:TRAP_HANDLER: 0
; COMPUTE_PGM_RSRC2:TGID_X_EN: 1
; COMPUTE_PGM_RSRC2:TGID_Y_EN: 1
; COMPUTE_PGM_RSRC2:TGID_Z_EN: 1
; COMPUTE_PGM_RSRC2:TIDIG_COMP_CNT: 1
	.section	.text._ZL40rocblas_copy_triangular_syrk_herk_kernelILb1ELb0ELb0E19rocblas_complex_numIfEPS1_Li16ELi16EEviT3_ilPT2_i,"axG",@progbits,_ZL40rocblas_copy_triangular_syrk_herk_kernelILb1ELb0ELb0E19rocblas_complex_numIfEPS1_Li16ELi16EEviT3_ilPT2_i,comdat
	.globl	_ZL40rocblas_copy_triangular_syrk_herk_kernelILb1ELb0ELb0E19rocblas_complex_numIfEPS1_Li16ELi16EEviT3_ilPT2_i ; -- Begin function _ZL40rocblas_copy_triangular_syrk_herk_kernelILb1ELb0ELb0E19rocblas_complex_numIfEPS1_Li16ELi16EEviT3_ilPT2_i
	.p2align	8
	.type	_ZL40rocblas_copy_triangular_syrk_herk_kernelILb1ELb0ELb0E19rocblas_complex_numIfEPS1_Li16ELi16EEviT3_ilPT2_i,@function
_ZL40rocblas_copy_triangular_syrk_herk_kernelILb1ELb0ELb0E19rocblas_complex_numIfEPS1_Li16ELi16EEviT3_ilPT2_i: ; @_ZL40rocblas_copy_triangular_syrk_herk_kernelILb1ELb0ELb0E19rocblas_complex_numIfEPS1_Li16ELi16EEviT3_ilPT2_i
; %bb.0:
	s_clause 0x1
	s_load_b32 s2, s[0:1], 0x3c
	s_load_b32 s3, s[0:1], 0x0
	v_bfe_u32 v1, v0, 10, 10
	v_and_b32_e32 v4, 0x3ff, v0
	s_waitcnt lgkmcnt(0)
	s_lshr_b32 s4, s2, 16
	s_and_b32 s2, s2, 0xffff
	v_mad_u64_u32 v[2:3], null, s14, s4, v[1:2]
	v_mad_u64_u32 v[0:1], null, s13, s2, v[4:5]
	s_delay_alu instid0(VALU_DEP_1) | instskip(SKIP_1) | instid1(VALU_DEP_2)
	v_max_i32_e32 v1, v2, v0
	v_cmp_lt_i32_e64 s2, v2, v0
	v_cmp_gt_i32_e32 vcc_lo, s3, v1
	s_delay_alu instid0(VALU_DEP_2) | instskip(NEXT) | instid1(SALU_CYCLE_1)
	s_and_b32 s2, s2, vcc_lo
	s_and_saveexec_b32 s4, s2
	s_cbranch_execz .LBB9_2
; %bb.1:
	s_clause 0x1
	s_load_b32 s2, s[0:1], 0x10
	s_load_b128 s[4:7], s[0:1], 0x18
	s_add_i32 s8, s3, -1
	s_load_b64 s[0:1], s[0:1], 0x8
	s_mul_hi_i32 s9, s8, s3
	s_mul_i32 s8, s8, s3
	s_lshr_b32 s10, s9, 31
	v_ashrrev_i32_e32 v3, 31, v2
	s_add_u32 s8, s8, s10
	s_addc_u32 s9, s9, 0
	s_delay_alu instid0(SALU_CYCLE_1) | instskip(NEXT) | instid1(VALU_DEP_1)
	s_ashr_i64 s[8:9], s[8:9], 1
	v_lshlrev_b64 v[6:7], 3, v[2:3]
	s_mul_i32 s9, s9, s15
	s_mul_hi_u32 s10, s8, s15
	s_mul_i32 s8, s8, s15
	s_add_i32 s9, s10, s9
	s_delay_alu instid0(SALU_CYCLE_1)
	s_lshl_b64 s[8:9], s[8:9], 3
	s_waitcnt lgkmcnt(0)
	v_mad_i64_i32 v[4:5], null, v0, s2, 0
	s_add_u32 s2, s6, s8
	s_mul_i32 s5, s15, s5
	s_mul_hi_u32 s6, s15, s4
	s_mul_i32 s4, s15, s4
	s_addc_u32 s7, s7, s9
	s_add_i32 s5, s6, s5
	s_delay_alu instid0(VALU_DEP_1) | instskip(SKIP_1) | instid1(SALU_CYCLE_1)
	v_lshlrev_b64 v[4:5], 3, v[4:5]
	s_lshl_b64 s[4:5], s[4:5], 3
	s_add_u32 s0, s0, s4
	s_addc_u32 s1, s1, s5
	s_delay_alu instid0(VALU_DEP_1) | instskip(NEXT) | instid1(VALU_DEP_2)
	v_add_co_u32 v1, vcc_lo, s0, v4
	v_add_co_ci_u32_e32 v4, vcc_lo, s1, v5, vcc_lo
	s_delay_alu instid0(VALU_DEP_2) | instskip(NEXT) | instid1(VALU_DEP_2)
	v_add_co_u32 v3, vcc_lo, v1, v6
	v_add_co_ci_u32_e32 v4, vcc_lo, v4, v7, vcc_lo
	v_not_b32_e32 v1, v2
	global_load_b64 v[3:4], v[3:4], off
	v_lshl_add_u32 v5, s3, 1, v1
	s_delay_alu instid0(VALU_DEP_1) | instskip(NEXT) | instid1(VALU_DEP_1)
	v_mul_lo_u32 v2, v5, v2
	v_lshrrev_b32_e32 v5, 31, v2
	s_delay_alu instid0(VALU_DEP_1) | instskip(NEXT) | instid1(VALU_DEP_1)
	v_add_nc_u32_e32 v2, v2, v5
	v_ashrrev_i32_e32 v2, 1, v2
	s_delay_alu instid0(VALU_DEP_1) | instskip(NEXT) | instid1(VALU_DEP_1)
	v_add3_u32 v0, v0, v1, v2
	v_ashrrev_i32_e32 v1, 31, v0
	s_delay_alu instid0(VALU_DEP_1) | instskip(NEXT) | instid1(VALU_DEP_1)
	v_lshlrev_b64 v[0:1], 3, v[0:1]
	v_add_co_u32 v0, vcc_lo, s2, v0
	s_delay_alu instid0(VALU_DEP_2)
	v_add_co_ci_u32_e32 v1, vcc_lo, s7, v1, vcc_lo
	s_waitcnt vmcnt(0)
	global_store_b64 v[0:1], v[3:4], off
.LBB9_2:
	s_nop 0
	s_sendmsg sendmsg(MSG_DEALLOC_VGPRS)
	s_endpgm
	.section	.rodata,"a",@progbits
	.p2align	6, 0x0
	.amdhsa_kernel _ZL40rocblas_copy_triangular_syrk_herk_kernelILb1ELb0ELb0E19rocblas_complex_numIfEPS1_Li16ELi16EEviT3_ilPT2_i
		.amdhsa_group_segment_fixed_size 0
		.amdhsa_private_segment_fixed_size 0
		.amdhsa_kernarg_size 304
		.amdhsa_user_sgpr_count 13
		.amdhsa_user_sgpr_dispatch_ptr 0
		.amdhsa_user_sgpr_queue_ptr 0
		.amdhsa_user_sgpr_kernarg_segment_ptr 1
		.amdhsa_user_sgpr_dispatch_id 0
		.amdhsa_user_sgpr_private_segment_size 0
		.amdhsa_wavefront_size32 1
		.amdhsa_uses_dynamic_stack 0
		.amdhsa_enable_private_segment 0
		.amdhsa_system_sgpr_workgroup_id_x 1
		.amdhsa_system_sgpr_workgroup_id_y 1
		.amdhsa_system_sgpr_workgroup_id_z 1
		.amdhsa_system_sgpr_workgroup_info 0
		.amdhsa_system_vgpr_workitem_id 1
		.amdhsa_next_free_vgpr 8
		.amdhsa_next_free_sgpr 16
		.amdhsa_reserve_vcc 1
		.amdhsa_float_round_mode_32 0
		.amdhsa_float_round_mode_16_64 0
		.amdhsa_float_denorm_mode_32 3
		.amdhsa_float_denorm_mode_16_64 3
		.amdhsa_dx10_clamp 1
		.amdhsa_ieee_mode 1
		.amdhsa_fp16_overflow 0
		.amdhsa_workgroup_processor_mode 1
		.amdhsa_memory_ordered 1
		.amdhsa_forward_progress 0
		.amdhsa_shared_vgpr_count 0
		.amdhsa_exception_fp_ieee_invalid_op 0
		.amdhsa_exception_fp_denorm_src 0
		.amdhsa_exception_fp_ieee_div_zero 0
		.amdhsa_exception_fp_ieee_overflow 0
		.amdhsa_exception_fp_ieee_underflow 0
		.amdhsa_exception_fp_ieee_inexact 0
		.amdhsa_exception_int_div_zero 0
	.end_amdhsa_kernel
	.section	.text._ZL40rocblas_copy_triangular_syrk_herk_kernelILb1ELb0ELb0E19rocblas_complex_numIfEPS1_Li16ELi16EEviT3_ilPT2_i,"axG",@progbits,_ZL40rocblas_copy_triangular_syrk_herk_kernelILb1ELb0ELb0E19rocblas_complex_numIfEPS1_Li16ELi16EEviT3_ilPT2_i,comdat
.Lfunc_end9:
	.size	_ZL40rocblas_copy_triangular_syrk_herk_kernelILb1ELb0ELb0E19rocblas_complex_numIfEPS1_Li16ELi16EEviT3_ilPT2_i, .Lfunc_end9-_ZL40rocblas_copy_triangular_syrk_herk_kernelILb1ELb0ELb0E19rocblas_complex_numIfEPS1_Li16ELi16EEviT3_ilPT2_i
                                        ; -- End function
	.section	.AMDGPU.csdata,"",@progbits
; Kernel info:
; codeLenInByte = 408
; NumSgprs: 18
; NumVgprs: 8
; ScratchSize: 0
; MemoryBound: 0
; FloatMode: 240
; IeeeMode: 1
; LDSByteSize: 0 bytes/workgroup (compile time only)
; SGPRBlocks: 2
; VGPRBlocks: 0
; NumSGPRsForWavesPerEU: 18
; NumVGPRsForWavesPerEU: 8
; Occupancy: 16
; WaveLimiterHint : 0
; COMPUTE_PGM_RSRC2:SCRATCH_EN: 0
; COMPUTE_PGM_RSRC2:USER_SGPR: 13
; COMPUTE_PGM_RSRC2:TRAP_HANDLER: 0
; COMPUTE_PGM_RSRC2:TGID_X_EN: 1
; COMPUTE_PGM_RSRC2:TGID_Y_EN: 1
; COMPUTE_PGM_RSRC2:TGID_Z_EN: 1
; COMPUTE_PGM_RSRC2:TIDIG_COMP_CNT: 1
	.section	.text._ZL40rocblas_copy_triangular_syrk_herk_kernelILb0ELb1ELb0E19rocblas_complex_numIfEPS1_Li16ELi16EEviT3_ilPT2_i,"axG",@progbits,_ZL40rocblas_copy_triangular_syrk_herk_kernelILb0ELb1ELb0E19rocblas_complex_numIfEPS1_Li16ELi16EEviT3_ilPT2_i,comdat
	.globl	_ZL40rocblas_copy_triangular_syrk_herk_kernelILb0ELb1ELb0E19rocblas_complex_numIfEPS1_Li16ELi16EEviT3_ilPT2_i ; -- Begin function _ZL40rocblas_copy_triangular_syrk_herk_kernelILb0ELb1ELb0E19rocblas_complex_numIfEPS1_Li16ELi16EEviT3_ilPT2_i
	.p2align	8
	.type	_ZL40rocblas_copy_triangular_syrk_herk_kernelILb0ELb1ELb0E19rocblas_complex_numIfEPS1_Li16ELi16EEviT3_ilPT2_i,@function
_ZL40rocblas_copy_triangular_syrk_herk_kernelILb0ELb1ELb0E19rocblas_complex_numIfEPS1_Li16ELi16EEviT3_ilPT2_i: ; @_ZL40rocblas_copy_triangular_syrk_herk_kernelILb0ELb1ELb0E19rocblas_complex_numIfEPS1_Li16ELi16EEviT3_ilPT2_i
; %bb.0:
	s_clause 0x1
	s_load_b32 s2, s[0:1], 0x3c
	s_load_b32 s3, s[0:1], 0x0
	v_bfe_u32 v2, v0, 10, 10
	v_and_b32_e32 v3, 0x3ff, v0
	s_waitcnt lgkmcnt(0)
	s_lshr_b32 s4, s2, 16
	s_and_b32 s2, s2, 0xffff
	s_delay_alu instid0(VALU_DEP_1) | instskip(SKIP_1) | instid1(VALU_DEP_1)
	v_mad_u64_u32 v[0:1], null, s14, s4, v[2:3]
	v_mad_u64_u32 v[1:2], null, s13, s2, v[3:4]
	v_max_i32_e32 v2, v0, v1
	v_cmp_gt_i32_e64 s2, v0, v1
	s_delay_alu instid0(VALU_DEP_2) | instskip(NEXT) | instid1(VALU_DEP_2)
	v_cmp_gt_i32_e32 vcc_lo, s3, v2
	s_and_b32 s2, s2, vcc_lo
	s_delay_alu instid0(SALU_CYCLE_1)
	s_and_saveexec_b32 s4, s2
	s_cbranch_execz .LBB10_2
; %bb.1:
	v_add_nc_u32_e32 v2, -1, v0
	s_load_b128 s[4:7], s[0:1], 0x18
	s_add_i32 s2, s3, -1
	s_delay_alu instid0(SALU_CYCLE_1) | instskip(NEXT) | instid1(VALU_DEP_1)
	s_mul_hi_i32 s8, s2, s3
	v_mul_lo_u32 v2, v2, v0
	s_mul_i32 s2, s2, s3
	s_lshr_b32 s3, s8, 31
	s_delay_alu instid0(SALU_CYCLE_1) | instskip(SKIP_1) | instid1(SALU_CYCLE_1)
	s_add_u32 s2, s2, s3
	s_addc_u32 s3, s8, 0
	s_ashr_i64 s[2:3], s[2:3], 1
	s_delay_alu instid0(VALU_DEP_1)
	v_lshrrev_b32_e32 v3, 31, v2
	s_mul_i32 s3, s3, s15
	s_mul_hi_u32 s8, s2, s15
	s_mul_i32 s2, s2, s15
	s_add_i32 s3, s8, s3
	v_add_nc_u32_e32 v2, v2, v3
	s_lshl_b64 s[2:3], s[2:3], 3
	s_waitcnt lgkmcnt(0)
	s_add_u32 s2, s6, s2
	s_addc_u32 s3, s7, s3
	v_ashrrev_i32_e32 v2, 1, v2
	s_delay_alu instid0(VALU_DEP_1) | instskip(NEXT) | instid1(VALU_DEP_1)
	v_add_nc_u32_e32 v2, v2, v1
	v_ashrrev_i32_e32 v3, 31, v2
	s_delay_alu instid0(VALU_DEP_1) | instskip(NEXT) | instid1(VALU_DEP_1)
	v_lshlrev_b64 v[2:3], 3, v[2:3]
	v_add_co_u32 v2, vcc_lo, s2, v2
	s_delay_alu instid0(VALU_DEP_2)
	v_add_co_ci_u32_e32 v3, vcc_lo, s3, v3, vcc_lo
	s_mul_i32 s3, s15, s5
	global_load_b64 v[2:3], v[2:3], off
	s_clause 0x1
	s_load_b32 s2, s[0:1], 0x10
	s_load_b64 s[0:1], s[0:1], 0x8
	s_waitcnt lgkmcnt(0)
	v_mad_i64_i32 v[4:5], null, v1, s2, 0
	s_mul_hi_u32 s2, s15, s4
	v_ashrrev_i32_e32 v1, 31, v0
	s_add_i32 s3, s2, s3
	s_mul_i32 s2, s15, s4
	s_delay_alu instid0(SALU_CYCLE_1) | instskip(NEXT) | instid1(VALU_DEP_2)
	s_lshl_b64 s[2:3], s[2:3], 3
	v_lshlrev_b64 v[4:5], 3, v[4:5]
	s_add_u32 s0, s0, s2
	v_lshlrev_b64 v[0:1], 3, v[0:1]
	s_addc_u32 s1, s1, s3
	s_delay_alu instid0(VALU_DEP_2) | instskip(NEXT) | instid1(VALU_DEP_3)
	v_add_co_u32 v4, vcc_lo, s0, v4
	v_add_co_ci_u32_e32 v5, vcc_lo, s1, v5, vcc_lo
	s_delay_alu instid0(VALU_DEP_2) | instskip(NEXT) | instid1(VALU_DEP_2)
	v_add_co_u32 v0, vcc_lo, v4, v0
	v_add_co_ci_u32_e32 v1, vcc_lo, v5, v1, vcc_lo
	s_waitcnt vmcnt(0)
	global_store_b64 v[0:1], v[2:3], off
.LBB10_2:
	s_nop 0
	s_sendmsg sendmsg(MSG_DEALLOC_VGPRS)
	s_endpgm
	.section	.rodata,"a",@progbits
	.p2align	6, 0x0
	.amdhsa_kernel _ZL40rocblas_copy_triangular_syrk_herk_kernelILb0ELb1ELb0E19rocblas_complex_numIfEPS1_Li16ELi16EEviT3_ilPT2_i
		.amdhsa_group_segment_fixed_size 0
		.amdhsa_private_segment_fixed_size 0
		.amdhsa_kernarg_size 304
		.amdhsa_user_sgpr_count 13
		.amdhsa_user_sgpr_dispatch_ptr 0
		.amdhsa_user_sgpr_queue_ptr 0
		.amdhsa_user_sgpr_kernarg_segment_ptr 1
		.amdhsa_user_sgpr_dispatch_id 0
		.amdhsa_user_sgpr_private_segment_size 0
		.amdhsa_wavefront_size32 1
		.amdhsa_uses_dynamic_stack 0
		.amdhsa_enable_private_segment 0
		.amdhsa_system_sgpr_workgroup_id_x 1
		.amdhsa_system_sgpr_workgroup_id_y 1
		.amdhsa_system_sgpr_workgroup_id_z 1
		.amdhsa_system_sgpr_workgroup_info 0
		.amdhsa_system_vgpr_workitem_id 1
		.amdhsa_next_free_vgpr 6
		.amdhsa_next_free_sgpr 16
		.amdhsa_reserve_vcc 1
		.amdhsa_float_round_mode_32 0
		.amdhsa_float_round_mode_16_64 0
		.amdhsa_float_denorm_mode_32 3
		.amdhsa_float_denorm_mode_16_64 3
		.amdhsa_dx10_clamp 1
		.amdhsa_ieee_mode 1
		.amdhsa_fp16_overflow 0
		.amdhsa_workgroup_processor_mode 1
		.amdhsa_memory_ordered 1
		.amdhsa_forward_progress 0
		.amdhsa_shared_vgpr_count 0
		.amdhsa_exception_fp_ieee_invalid_op 0
		.amdhsa_exception_fp_denorm_src 0
		.amdhsa_exception_fp_ieee_div_zero 0
		.amdhsa_exception_fp_ieee_overflow 0
		.amdhsa_exception_fp_ieee_underflow 0
		.amdhsa_exception_fp_ieee_inexact 0
		.amdhsa_exception_int_div_zero 0
	.end_amdhsa_kernel
	.section	.text._ZL40rocblas_copy_triangular_syrk_herk_kernelILb0ELb1ELb0E19rocblas_complex_numIfEPS1_Li16ELi16EEviT3_ilPT2_i,"axG",@progbits,_ZL40rocblas_copy_triangular_syrk_herk_kernelILb0ELb1ELb0E19rocblas_complex_numIfEPS1_Li16ELi16EEviT3_ilPT2_i,comdat
.Lfunc_end10:
	.size	_ZL40rocblas_copy_triangular_syrk_herk_kernelILb0ELb1ELb0E19rocblas_complex_numIfEPS1_Li16ELi16EEviT3_ilPT2_i, .Lfunc_end10-_ZL40rocblas_copy_triangular_syrk_herk_kernelILb0ELb1ELb0E19rocblas_complex_numIfEPS1_Li16ELi16EEviT3_ilPT2_i
                                        ; -- End function
	.section	.AMDGPU.csdata,"",@progbits
; Kernel info:
; codeLenInByte = 400
; NumSgprs: 18
; NumVgprs: 6
; ScratchSize: 0
; MemoryBound: 0
; FloatMode: 240
; IeeeMode: 1
; LDSByteSize: 0 bytes/workgroup (compile time only)
; SGPRBlocks: 2
; VGPRBlocks: 0
; NumSGPRsForWavesPerEU: 18
; NumVGPRsForWavesPerEU: 6
; Occupancy: 16
; WaveLimiterHint : 0
; COMPUTE_PGM_RSRC2:SCRATCH_EN: 0
; COMPUTE_PGM_RSRC2:USER_SGPR: 13
; COMPUTE_PGM_RSRC2:TRAP_HANDLER: 0
; COMPUTE_PGM_RSRC2:TGID_X_EN: 1
; COMPUTE_PGM_RSRC2:TGID_Y_EN: 1
; COMPUTE_PGM_RSRC2:TGID_Z_EN: 1
; COMPUTE_PGM_RSRC2:TIDIG_COMP_CNT: 1
	.section	.text._ZL40rocblas_copy_triangular_syrk_herk_kernelILb0ELb0ELb0E19rocblas_complex_numIfEPS1_Li16ELi16EEviT3_ilPT2_i,"axG",@progbits,_ZL40rocblas_copy_triangular_syrk_herk_kernelILb0ELb0ELb0E19rocblas_complex_numIfEPS1_Li16ELi16EEviT3_ilPT2_i,comdat
	.globl	_ZL40rocblas_copy_triangular_syrk_herk_kernelILb0ELb0ELb0E19rocblas_complex_numIfEPS1_Li16ELi16EEviT3_ilPT2_i ; -- Begin function _ZL40rocblas_copy_triangular_syrk_herk_kernelILb0ELb0ELb0E19rocblas_complex_numIfEPS1_Li16ELi16EEviT3_ilPT2_i
	.p2align	8
	.type	_ZL40rocblas_copy_triangular_syrk_herk_kernelILb0ELb0ELb0E19rocblas_complex_numIfEPS1_Li16ELi16EEviT3_ilPT2_i,@function
_ZL40rocblas_copy_triangular_syrk_herk_kernelILb0ELb0ELb0E19rocblas_complex_numIfEPS1_Li16ELi16EEviT3_ilPT2_i: ; @_ZL40rocblas_copy_triangular_syrk_herk_kernelILb0ELb0ELb0E19rocblas_complex_numIfEPS1_Li16ELi16EEviT3_ilPT2_i
; %bb.0:
	s_clause 0x1
	s_load_b32 s2, s[0:1], 0x3c
	s_load_b32 s3, s[0:1], 0x0
	v_bfe_u32 v2, v0, 10, 10
	v_and_b32_e32 v3, 0x3ff, v0
	s_waitcnt lgkmcnt(0)
	s_lshr_b32 s4, s2, 16
	s_and_b32 s2, s2, 0xffff
	s_delay_alu instid0(VALU_DEP_1) | instskip(SKIP_1) | instid1(VALU_DEP_1)
	v_mad_u64_u32 v[0:1], null, s14, s4, v[2:3]
	v_mad_u64_u32 v[1:2], null, s13, s2, v[3:4]
	v_max_i32_e32 v2, v0, v1
	v_cmp_lt_i32_e64 s2, v0, v1
	s_delay_alu instid0(VALU_DEP_2) | instskip(NEXT) | instid1(VALU_DEP_2)
	v_cmp_gt_i32_e32 vcc_lo, s3, v2
	s_and_b32 s2, s2, vcc_lo
	s_delay_alu instid0(SALU_CYCLE_1)
	s_and_saveexec_b32 s4, s2
	s_cbranch_execz .LBB11_2
; %bb.1:
	v_not_b32_e32 v2, v0
	s_load_b128 s[4:7], s[0:1], 0x18
	s_add_i32 s2, s3, -1
	s_delay_alu instid0(SALU_CYCLE_1) | instskip(NEXT) | instid1(VALU_DEP_1)
	s_mul_hi_i32 s8, s2, s3
	v_lshl_add_u32 v3, s3, 1, v2
	s_mul_i32 s2, s2, s3
	s_lshr_b32 s3, s8, 31
	s_delay_alu instid0(SALU_CYCLE_1) | instskip(NEXT) | instid1(VALU_DEP_1)
	s_add_u32 s2, s2, s3
	v_mul_lo_u32 v3, v3, v0
	s_addc_u32 s3, s8, 0
	s_delay_alu instid0(SALU_CYCLE_1) | instskip(NEXT) | instid1(SALU_CYCLE_1)
	s_ashr_i64 s[2:3], s[2:3], 1
	s_mul_i32 s3, s3, s15
	s_mul_hi_u32 s8, s2, s15
	s_mul_i32 s2, s2, s15
	s_delay_alu instid0(VALU_DEP_1) | instskip(SKIP_1) | instid1(SALU_CYCLE_1)
	v_lshrrev_b32_e32 v4, 31, v3
	s_add_i32 s3, s8, s3
	s_lshl_b64 s[2:3], s[2:3], 3
	s_waitcnt lgkmcnt(0)
	s_add_u32 s2, s6, s2
	v_add_nc_u32_e32 v3, v3, v4
	s_addc_u32 s3, s7, s3
	s_delay_alu instid0(VALU_DEP_1) | instskip(NEXT) | instid1(VALU_DEP_1)
	v_ashrrev_i32_e32 v3, 1, v3
	v_add3_u32 v2, v1, v2, v3
	s_delay_alu instid0(VALU_DEP_1) | instskip(NEXT) | instid1(VALU_DEP_1)
	v_ashrrev_i32_e32 v3, 31, v2
	v_lshlrev_b64 v[2:3], 3, v[2:3]
	s_delay_alu instid0(VALU_DEP_1) | instskip(NEXT) | instid1(VALU_DEP_2)
	v_add_co_u32 v2, vcc_lo, s2, v2
	v_add_co_ci_u32_e32 v3, vcc_lo, s3, v3, vcc_lo
	s_mul_i32 s3, s15, s5
	global_load_b64 v[2:3], v[2:3], off
	s_clause 0x1
	s_load_b32 s2, s[0:1], 0x10
	s_load_b64 s[0:1], s[0:1], 0x8
	s_waitcnt lgkmcnt(0)
	v_mad_i64_i32 v[4:5], null, v1, s2, 0
	s_mul_hi_u32 s2, s15, s4
	v_ashrrev_i32_e32 v1, 31, v0
	s_add_i32 s3, s2, s3
	s_mul_i32 s2, s15, s4
	s_delay_alu instid0(SALU_CYCLE_1) | instskip(NEXT) | instid1(VALU_DEP_2)
	s_lshl_b64 s[2:3], s[2:3], 3
	v_lshlrev_b64 v[4:5], 3, v[4:5]
	s_add_u32 s0, s0, s2
	v_lshlrev_b64 v[0:1], 3, v[0:1]
	s_addc_u32 s1, s1, s3
	s_delay_alu instid0(VALU_DEP_2) | instskip(NEXT) | instid1(VALU_DEP_3)
	v_add_co_u32 v4, vcc_lo, s0, v4
	v_add_co_ci_u32_e32 v5, vcc_lo, s1, v5, vcc_lo
	s_delay_alu instid0(VALU_DEP_2) | instskip(NEXT) | instid1(VALU_DEP_2)
	v_add_co_u32 v0, vcc_lo, v4, v0
	v_add_co_ci_u32_e32 v1, vcc_lo, v5, v1, vcc_lo
	s_waitcnt vmcnt(0)
	global_store_b64 v[0:1], v[2:3], off
.LBB11_2:
	s_nop 0
	s_sendmsg sendmsg(MSG_DEALLOC_VGPRS)
	s_endpgm
	.section	.rodata,"a",@progbits
	.p2align	6, 0x0
	.amdhsa_kernel _ZL40rocblas_copy_triangular_syrk_herk_kernelILb0ELb0ELb0E19rocblas_complex_numIfEPS1_Li16ELi16EEviT3_ilPT2_i
		.amdhsa_group_segment_fixed_size 0
		.amdhsa_private_segment_fixed_size 0
		.amdhsa_kernarg_size 304
		.amdhsa_user_sgpr_count 13
		.amdhsa_user_sgpr_dispatch_ptr 0
		.amdhsa_user_sgpr_queue_ptr 0
		.amdhsa_user_sgpr_kernarg_segment_ptr 1
		.amdhsa_user_sgpr_dispatch_id 0
		.amdhsa_user_sgpr_private_segment_size 0
		.amdhsa_wavefront_size32 1
		.amdhsa_uses_dynamic_stack 0
		.amdhsa_enable_private_segment 0
		.amdhsa_system_sgpr_workgroup_id_x 1
		.amdhsa_system_sgpr_workgroup_id_y 1
		.amdhsa_system_sgpr_workgroup_id_z 1
		.amdhsa_system_sgpr_workgroup_info 0
		.amdhsa_system_vgpr_workitem_id 1
		.amdhsa_next_free_vgpr 6
		.amdhsa_next_free_sgpr 16
		.amdhsa_reserve_vcc 1
		.amdhsa_float_round_mode_32 0
		.amdhsa_float_round_mode_16_64 0
		.amdhsa_float_denorm_mode_32 3
		.amdhsa_float_denorm_mode_16_64 3
		.amdhsa_dx10_clamp 1
		.amdhsa_ieee_mode 1
		.amdhsa_fp16_overflow 0
		.amdhsa_workgroup_processor_mode 1
		.amdhsa_memory_ordered 1
		.amdhsa_forward_progress 0
		.amdhsa_shared_vgpr_count 0
		.amdhsa_exception_fp_ieee_invalid_op 0
		.amdhsa_exception_fp_denorm_src 0
		.amdhsa_exception_fp_ieee_div_zero 0
		.amdhsa_exception_fp_ieee_overflow 0
		.amdhsa_exception_fp_ieee_underflow 0
		.amdhsa_exception_fp_ieee_inexact 0
		.amdhsa_exception_int_div_zero 0
	.end_amdhsa_kernel
	.section	.text._ZL40rocblas_copy_triangular_syrk_herk_kernelILb0ELb0ELb0E19rocblas_complex_numIfEPS1_Li16ELi16EEviT3_ilPT2_i,"axG",@progbits,_ZL40rocblas_copy_triangular_syrk_herk_kernelILb0ELb0ELb0E19rocblas_complex_numIfEPS1_Li16ELi16EEviT3_ilPT2_i,comdat
.Lfunc_end11:
	.size	_ZL40rocblas_copy_triangular_syrk_herk_kernelILb0ELb0ELb0E19rocblas_complex_numIfEPS1_Li16ELi16EEviT3_ilPT2_i, .Lfunc_end11-_ZL40rocblas_copy_triangular_syrk_herk_kernelILb0ELb0ELb0E19rocblas_complex_numIfEPS1_Li16ELi16EEviT3_ilPT2_i
                                        ; -- End function
	.section	.AMDGPU.csdata,"",@progbits
; Kernel info:
; codeLenInByte = 416
; NumSgprs: 18
; NumVgprs: 6
; ScratchSize: 0
; MemoryBound: 0
; FloatMode: 240
; IeeeMode: 1
; LDSByteSize: 0 bytes/workgroup (compile time only)
; SGPRBlocks: 2
; VGPRBlocks: 0
; NumSGPRsForWavesPerEU: 18
; NumVGPRsForWavesPerEU: 6
; Occupancy: 16
; WaveLimiterHint : 0
; COMPUTE_PGM_RSRC2:SCRATCH_EN: 0
; COMPUTE_PGM_RSRC2:USER_SGPR: 13
; COMPUTE_PGM_RSRC2:TRAP_HANDLER: 0
; COMPUTE_PGM_RSRC2:TGID_X_EN: 1
; COMPUTE_PGM_RSRC2:TGID_Y_EN: 1
; COMPUTE_PGM_RSRC2:TGID_Z_EN: 1
; COMPUTE_PGM_RSRC2:TIDIG_COMP_CNT: 1
	.section	.text._ZL40rocblas_copy_triangular_syrk_herk_kernelILb1ELb1ELb0E19rocblas_complex_numIdEPS1_Li16ELi16EEviT3_ilPT2_i,"axG",@progbits,_ZL40rocblas_copy_triangular_syrk_herk_kernelILb1ELb1ELb0E19rocblas_complex_numIdEPS1_Li16ELi16EEviT3_ilPT2_i,comdat
	.globl	_ZL40rocblas_copy_triangular_syrk_herk_kernelILb1ELb1ELb0E19rocblas_complex_numIdEPS1_Li16ELi16EEviT3_ilPT2_i ; -- Begin function _ZL40rocblas_copy_triangular_syrk_herk_kernelILb1ELb1ELb0E19rocblas_complex_numIdEPS1_Li16ELi16EEviT3_ilPT2_i
	.p2align	8
	.type	_ZL40rocblas_copy_triangular_syrk_herk_kernelILb1ELb1ELb0E19rocblas_complex_numIdEPS1_Li16ELi16EEviT3_ilPT2_i,@function
_ZL40rocblas_copy_triangular_syrk_herk_kernelILb1ELb1ELb0E19rocblas_complex_numIdEPS1_Li16ELi16EEviT3_ilPT2_i: ; @_ZL40rocblas_copy_triangular_syrk_herk_kernelILb1ELb1ELb0E19rocblas_complex_numIdEPS1_Li16ELi16EEviT3_ilPT2_i
; %bb.0:
	s_clause 0x1
	s_load_b32 s2, s[0:1], 0x3c
	s_load_b32 s3, s[0:1], 0x0
	v_bfe_u32 v1, v0, 10, 10
	v_and_b32_e32 v4, 0x3ff, v0
	s_waitcnt lgkmcnt(0)
	s_lshr_b32 s4, s2, 16
	s_and_b32 s2, s2, 0xffff
	v_mad_u64_u32 v[2:3], null, s14, s4, v[1:2]
	v_mad_u64_u32 v[0:1], null, s13, s2, v[4:5]
	s_delay_alu instid0(VALU_DEP_1) | instskip(SKIP_1) | instid1(VALU_DEP_2)
	v_max_i32_e32 v1, v2, v0
	v_cmp_gt_i32_e64 s2, v2, v0
	v_cmp_gt_i32_e32 vcc_lo, s3, v1
	s_delay_alu instid0(VALU_DEP_2) | instskip(NEXT) | instid1(SALU_CYCLE_1)
	s_and_b32 s2, s2, vcc_lo
	s_and_saveexec_b32 s4, s2
	s_cbranch_execz .LBB12_2
; %bb.1:
	s_clause 0x1
	s_load_b32 s8, s[0:1], 0x10
	s_load_b128 s[4:7], s[0:1], 0x18
	s_add_i32 s2, s3, -1
	s_load_b64 s[0:1], s[0:1], 0x8
	s_mul_hi_i32 s9, s2, s3
	s_mul_i32 s2, s2, s3
	s_lshr_b32 s3, s9, 31
	v_ashrrev_i32_e32 v3, 31, v2
	s_add_u32 s2, s2, s3
	s_addc_u32 s3, s9, 0
	s_delay_alu instid0(SALU_CYCLE_1) | instskip(NEXT) | instid1(VALU_DEP_1)
	s_ashr_i64 s[2:3], s[2:3], 1
	v_lshlrev_b64 v[6:7], 4, v[2:3]
	s_mul_i32 s3, s3, s15
	s_mul_hi_u32 s9, s2, s15
	s_mul_i32 s2, s2, s15
	s_add_i32 s3, s9, s3
	s_delay_alu instid0(SALU_CYCLE_1)
	s_lshl_b64 s[2:3], s[2:3], 4
	s_waitcnt lgkmcnt(0)
	v_mad_i64_i32 v[4:5], null, v0, s8, 0
	s_mul_i32 s5, s15, s5
	s_mul_hi_u32 s8, s15, s4
	s_add_u32 s6, s6, s2
	s_mul_i32 s2, s15, s4
	s_addc_u32 s4, s7, s3
	s_add_i32 s3, s8, s5
	s_delay_alu instid0(VALU_DEP_1) | instskip(SKIP_1) | instid1(SALU_CYCLE_1)
	v_lshlrev_b64 v[4:5], 4, v[4:5]
	s_lshl_b64 s[2:3], s[2:3], 4
	s_add_u32 s0, s0, s2
	s_addc_u32 s1, s1, s3
	s_delay_alu instid0(VALU_DEP_1) | instskip(NEXT) | instid1(VALU_DEP_2)
	v_add_co_u32 v1, vcc_lo, s0, v4
	v_add_co_ci_u32_e32 v4, vcc_lo, s1, v5, vcc_lo
	s_delay_alu instid0(VALU_DEP_2) | instskip(NEXT) | instid1(VALU_DEP_2)
	v_add_co_u32 v3, vcc_lo, v1, v6
	v_add_co_ci_u32_e32 v4, vcc_lo, v4, v7, vcc_lo
	v_add_nc_u32_e32 v1, -1, v2
	global_load_b128 v[3:6], v[3:4], off
	v_mul_lo_u32 v1, v1, v2
	s_delay_alu instid0(VALU_DEP_1) | instskip(NEXT) | instid1(VALU_DEP_1)
	v_lshrrev_b32_e32 v2, 31, v1
	v_add_nc_u32_e32 v1, v1, v2
	s_delay_alu instid0(VALU_DEP_1) | instskip(NEXT) | instid1(VALU_DEP_1)
	v_ashrrev_i32_e32 v1, 1, v1
	v_add_nc_u32_e32 v0, v1, v0
	s_delay_alu instid0(VALU_DEP_1) | instskip(NEXT) | instid1(VALU_DEP_1)
	v_ashrrev_i32_e32 v1, 31, v0
	v_lshlrev_b64 v[0:1], 4, v[0:1]
	s_delay_alu instid0(VALU_DEP_1) | instskip(NEXT) | instid1(VALU_DEP_2)
	v_add_co_u32 v0, vcc_lo, s6, v0
	v_add_co_ci_u32_e32 v1, vcc_lo, s4, v1, vcc_lo
	s_waitcnt vmcnt(0)
	global_store_b128 v[0:1], v[3:6], off
.LBB12_2:
	s_nop 0
	s_sendmsg sendmsg(MSG_DEALLOC_VGPRS)
	s_endpgm
	.section	.rodata,"a",@progbits
	.p2align	6, 0x0
	.amdhsa_kernel _ZL40rocblas_copy_triangular_syrk_herk_kernelILb1ELb1ELb0E19rocblas_complex_numIdEPS1_Li16ELi16EEviT3_ilPT2_i
		.amdhsa_group_segment_fixed_size 0
		.amdhsa_private_segment_fixed_size 0
		.amdhsa_kernarg_size 304
		.amdhsa_user_sgpr_count 13
		.amdhsa_user_sgpr_dispatch_ptr 0
		.amdhsa_user_sgpr_queue_ptr 0
		.amdhsa_user_sgpr_kernarg_segment_ptr 1
		.amdhsa_user_sgpr_dispatch_id 0
		.amdhsa_user_sgpr_private_segment_size 0
		.amdhsa_wavefront_size32 1
		.amdhsa_uses_dynamic_stack 0
		.amdhsa_enable_private_segment 0
		.amdhsa_system_sgpr_workgroup_id_x 1
		.amdhsa_system_sgpr_workgroup_id_y 1
		.amdhsa_system_sgpr_workgroup_id_z 1
		.amdhsa_system_sgpr_workgroup_info 0
		.amdhsa_system_vgpr_workitem_id 1
		.amdhsa_next_free_vgpr 8
		.amdhsa_next_free_sgpr 16
		.amdhsa_reserve_vcc 1
		.amdhsa_float_round_mode_32 0
		.amdhsa_float_round_mode_16_64 0
		.amdhsa_float_denorm_mode_32 3
		.amdhsa_float_denorm_mode_16_64 3
		.amdhsa_dx10_clamp 1
		.amdhsa_ieee_mode 1
		.amdhsa_fp16_overflow 0
		.amdhsa_workgroup_processor_mode 1
		.amdhsa_memory_ordered 1
		.amdhsa_forward_progress 0
		.amdhsa_shared_vgpr_count 0
		.amdhsa_exception_fp_ieee_invalid_op 0
		.amdhsa_exception_fp_denorm_src 0
		.amdhsa_exception_fp_ieee_div_zero 0
		.amdhsa_exception_fp_ieee_overflow 0
		.amdhsa_exception_fp_ieee_underflow 0
		.amdhsa_exception_fp_ieee_inexact 0
		.amdhsa_exception_int_div_zero 0
	.end_amdhsa_kernel
	.section	.text._ZL40rocblas_copy_triangular_syrk_herk_kernelILb1ELb1ELb0E19rocblas_complex_numIdEPS1_Li16ELi16EEviT3_ilPT2_i,"axG",@progbits,_ZL40rocblas_copy_triangular_syrk_herk_kernelILb1ELb1ELb0E19rocblas_complex_numIdEPS1_Li16ELi16EEviT3_ilPT2_i,comdat
.Lfunc_end12:
	.size	_ZL40rocblas_copy_triangular_syrk_herk_kernelILb1ELb1ELb0E19rocblas_complex_numIdEPS1_Li16ELi16EEviT3_ilPT2_i, .Lfunc_end12-_ZL40rocblas_copy_triangular_syrk_herk_kernelILb1ELb1ELb0E19rocblas_complex_numIdEPS1_Li16ELi16EEviT3_ilPT2_i
                                        ; -- End function
	.section	.AMDGPU.csdata,"",@progbits
; Kernel info:
; codeLenInByte = 392
; NumSgprs: 18
; NumVgprs: 8
; ScratchSize: 0
; MemoryBound: 0
; FloatMode: 240
; IeeeMode: 1
; LDSByteSize: 0 bytes/workgroup (compile time only)
; SGPRBlocks: 2
; VGPRBlocks: 0
; NumSGPRsForWavesPerEU: 18
; NumVGPRsForWavesPerEU: 8
; Occupancy: 16
; WaveLimiterHint : 0
; COMPUTE_PGM_RSRC2:SCRATCH_EN: 0
; COMPUTE_PGM_RSRC2:USER_SGPR: 13
; COMPUTE_PGM_RSRC2:TRAP_HANDLER: 0
; COMPUTE_PGM_RSRC2:TGID_X_EN: 1
; COMPUTE_PGM_RSRC2:TGID_Y_EN: 1
; COMPUTE_PGM_RSRC2:TGID_Z_EN: 1
; COMPUTE_PGM_RSRC2:TIDIG_COMP_CNT: 1
	.section	.text._ZL40rocblas_copy_triangular_syrk_herk_kernelILb1ELb0ELb0E19rocblas_complex_numIdEPS1_Li16ELi16EEviT3_ilPT2_i,"axG",@progbits,_ZL40rocblas_copy_triangular_syrk_herk_kernelILb1ELb0ELb0E19rocblas_complex_numIdEPS1_Li16ELi16EEviT3_ilPT2_i,comdat
	.globl	_ZL40rocblas_copy_triangular_syrk_herk_kernelILb1ELb0ELb0E19rocblas_complex_numIdEPS1_Li16ELi16EEviT3_ilPT2_i ; -- Begin function _ZL40rocblas_copy_triangular_syrk_herk_kernelILb1ELb0ELb0E19rocblas_complex_numIdEPS1_Li16ELi16EEviT3_ilPT2_i
	.p2align	8
	.type	_ZL40rocblas_copy_triangular_syrk_herk_kernelILb1ELb0ELb0E19rocblas_complex_numIdEPS1_Li16ELi16EEviT3_ilPT2_i,@function
_ZL40rocblas_copy_triangular_syrk_herk_kernelILb1ELb0ELb0E19rocblas_complex_numIdEPS1_Li16ELi16EEviT3_ilPT2_i: ; @_ZL40rocblas_copy_triangular_syrk_herk_kernelILb1ELb0ELb0E19rocblas_complex_numIdEPS1_Li16ELi16EEviT3_ilPT2_i
; %bb.0:
	s_clause 0x1
	s_load_b32 s2, s[0:1], 0x3c
	s_load_b32 s3, s[0:1], 0x0
	v_bfe_u32 v1, v0, 10, 10
	v_and_b32_e32 v4, 0x3ff, v0
	s_waitcnt lgkmcnt(0)
	s_lshr_b32 s4, s2, 16
	s_and_b32 s2, s2, 0xffff
	v_mad_u64_u32 v[2:3], null, s14, s4, v[1:2]
	v_mad_u64_u32 v[0:1], null, s13, s2, v[4:5]
	s_delay_alu instid0(VALU_DEP_1) | instskip(SKIP_1) | instid1(VALU_DEP_2)
	v_max_i32_e32 v1, v2, v0
	v_cmp_lt_i32_e64 s2, v2, v0
	v_cmp_gt_i32_e32 vcc_lo, s3, v1
	s_delay_alu instid0(VALU_DEP_2) | instskip(NEXT) | instid1(SALU_CYCLE_1)
	s_and_b32 s2, s2, vcc_lo
	s_and_saveexec_b32 s4, s2
	s_cbranch_execz .LBB13_2
; %bb.1:
	s_clause 0x1
	s_load_b32 s2, s[0:1], 0x10
	s_load_b128 s[4:7], s[0:1], 0x18
	s_add_i32 s8, s3, -1
	s_load_b64 s[0:1], s[0:1], 0x8
	s_mul_hi_i32 s9, s8, s3
	s_mul_i32 s8, s8, s3
	s_lshr_b32 s10, s9, 31
	v_ashrrev_i32_e32 v3, 31, v2
	s_add_u32 s8, s8, s10
	s_addc_u32 s9, s9, 0
	s_delay_alu instid0(SALU_CYCLE_1) | instskip(NEXT) | instid1(VALU_DEP_1)
	s_ashr_i64 s[8:9], s[8:9], 1
	v_lshlrev_b64 v[6:7], 4, v[2:3]
	s_mul_i32 s9, s9, s15
	s_mul_hi_u32 s10, s8, s15
	s_mul_i32 s8, s8, s15
	s_add_i32 s9, s10, s9
	s_delay_alu instid0(SALU_CYCLE_1)
	s_lshl_b64 s[8:9], s[8:9], 4
	s_waitcnt lgkmcnt(0)
	v_mad_i64_i32 v[4:5], null, v0, s2, 0
	s_add_u32 s2, s6, s8
	s_mul_i32 s5, s15, s5
	s_mul_hi_u32 s6, s15, s4
	s_mul_i32 s4, s15, s4
	s_addc_u32 s7, s7, s9
	s_add_i32 s5, s6, s5
	s_delay_alu instid0(VALU_DEP_1) | instskip(SKIP_1) | instid1(SALU_CYCLE_1)
	v_lshlrev_b64 v[4:5], 4, v[4:5]
	s_lshl_b64 s[4:5], s[4:5], 4
	s_add_u32 s0, s0, s4
	s_addc_u32 s1, s1, s5
	s_delay_alu instid0(VALU_DEP_1) | instskip(NEXT) | instid1(VALU_DEP_2)
	v_add_co_u32 v1, vcc_lo, s0, v4
	v_add_co_ci_u32_e32 v4, vcc_lo, s1, v5, vcc_lo
	s_delay_alu instid0(VALU_DEP_2) | instskip(NEXT) | instid1(VALU_DEP_2)
	v_add_co_u32 v3, vcc_lo, v1, v6
	v_add_co_ci_u32_e32 v4, vcc_lo, v4, v7, vcc_lo
	v_not_b32_e32 v1, v2
	global_load_b128 v[3:6], v[3:4], off
	v_lshl_add_u32 v7, s3, 1, v1
	s_delay_alu instid0(VALU_DEP_1) | instskip(NEXT) | instid1(VALU_DEP_1)
	v_mul_lo_u32 v2, v7, v2
	v_lshrrev_b32_e32 v7, 31, v2
	s_delay_alu instid0(VALU_DEP_1) | instskip(NEXT) | instid1(VALU_DEP_1)
	v_add_nc_u32_e32 v2, v2, v7
	v_ashrrev_i32_e32 v2, 1, v2
	s_delay_alu instid0(VALU_DEP_1) | instskip(NEXT) | instid1(VALU_DEP_1)
	v_add3_u32 v0, v0, v1, v2
	v_ashrrev_i32_e32 v1, 31, v0
	s_delay_alu instid0(VALU_DEP_1) | instskip(NEXT) | instid1(VALU_DEP_1)
	v_lshlrev_b64 v[0:1], 4, v[0:1]
	v_add_co_u32 v0, vcc_lo, s2, v0
	s_delay_alu instid0(VALU_DEP_2)
	v_add_co_ci_u32_e32 v1, vcc_lo, s7, v1, vcc_lo
	s_waitcnt vmcnt(0)
	global_store_b128 v[0:1], v[3:6], off
.LBB13_2:
	s_nop 0
	s_sendmsg sendmsg(MSG_DEALLOC_VGPRS)
	s_endpgm
	.section	.rodata,"a",@progbits
	.p2align	6, 0x0
	.amdhsa_kernel _ZL40rocblas_copy_triangular_syrk_herk_kernelILb1ELb0ELb0E19rocblas_complex_numIdEPS1_Li16ELi16EEviT3_ilPT2_i
		.amdhsa_group_segment_fixed_size 0
		.amdhsa_private_segment_fixed_size 0
		.amdhsa_kernarg_size 304
		.amdhsa_user_sgpr_count 13
		.amdhsa_user_sgpr_dispatch_ptr 0
		.amdhsa_user_sgpr_queue_ptr 0
		.amdhsa_user_sgpr_kernarg_segment_ptr 1
		.amdhsa_user_sgpr_dispatch_id 0
		.amdhsa_user_sgpr_private_segment_size 0
		.amdhsa_wavefront_size32 1
		.amdhsa_uses_dynamic_stack 0
		.amdhsa_enable_private_segment 0
		.amdhsa_system_sgpr_workgroup_id_x 1
		.amdhsa_system_sgpr_workgroup_id_y 1
		.amdhsa_system_sgpr_workgroup_id_z 1
		.amdhsa_system_sgpr_workgroup_info 0
		.amdhsa_system_vgpr_workitem_id 1
		.amdhsa_next_free_vgpr 8
		.amdhsa_next_free_sgpr 16
		.amdhsa_reserve_vcc 1
		.amdhsa_float_round_mode_32 0
		.amdhsa_float_round_mode_16_64 0
		.amdhsa_float_denorm_mode_32 3
		.amdhsa_float_denorm_mode_16_64 3
		.amdhsa_dx10_clamp 1
		.amdhsa_ieee_mode 1
		.amdhsa_fp16_overflow 0
		.amdhsa_workgroup_processor_mode 1
		.amdhsa_memory_ordered 1
		.amdhsa_forward_progress 0
		.amdhsa_shared_vgpr_count 0
		.amdhsa_exception_fp_ieee_invalid_op 0
		.amdhsa_exception_fp_denorm_src 0
		.amdhsa_exception_fp_ieee_div_zero 0
		.amdhsa_exception_fp_ieee_overflow 0
		.amdhsa_exception_fp_ieee_underflow 0
		.amdhsa_exception_fp_ieee_inexact 0
		.amdhsa_exception_int_div_zero 0
	.end_amdhsa_kernel
	.section	.text._ZL40rocblas_copy_triangular_syrk_herk_kernelILb1ELb0ELb0E19rocblas_complex_numIdEPS1_Li16ELi16EEviT3_ilPT2_i,"axG",@progbits,_ZL40rocblas_copy_triangular_syrk_herk_kernelILb1ELb0ELb0E19rocblas_complex_numIdEPS1_Li16ELi16EEviT3_ilPT2_i,comdat
.Lfunc_end13:
	.size	_ZL40rocblas_copy_triangular_syrk_herk_kernelILb1ELb0ELb0E19rocblas_complex_numIdEPS1_Li16ELi16EEviT3_ilPT2_i, .Lfunc_end13-_ZL40rocblas_copy_triangular_syrk_herk_kernelILb1ELb0ELb0E19rocblas_complex_numIdEPS1_Li16ELi16EEviT3_ilPT2_i
                                        ; -- End function
	.section	.AMDGPU.csdata,"",@progbits
; Kernel info:
; codeLenInByte = 408
; NumSgprs: 18
; NumVgprs: 8
; ScratchSize: 0
; MemoryBound: 0
; FloatMode: 240
; IeeeMode: 1
; LDSByteSize: 0 bytes/workgroup (compile time only)
; SGPRBlocks: 2
; VGPRBlocks: 0
; NumSGPRsForWavesPerEU: 18
; NumVGPRsForWavesPerEU: 8
; Occupancy: 16
; WaveLimiterHint : 0
; COMPUTE_PGM_RSRC2:SCRATCH_EN: 0
; COMPUTE_PGM_RSRC2:USER_SGPR: 13
; COMPUTE_PGM_RSRC2:TRAP_HANDLER: 0
; COMPUTE_PGM_RSRC2:TGID_X_EN: 1
; COMPUTE_PGM_RSRC2:TGID_Y_EN: 1
; COMPUTE_PGM_RSRC2:TGID_Z_EN: 1
; COMPUTE_PGM_RSRC2:TIDIG_COMP_CNT: 1
	.section	.text._ZL40rocblas_copy_triangular_syrk_herk_kernelILb0ELb1ELb0E19rocblas_complex_numIdEPS1_Li16ELi16EEviT3_ilPT2_i,"axG",@progbits,_ZL40rocblas_copy_triangular_syrk_herk_kernelILb0ELb1ELb0E19rocblas_complex_numIdEPS1_Li16ELi16EEviT3_ilPT2_i,comdat
	.globl	_ZL40rocblas_copy_triangular_syrk_herk_kernelILb0ELb1ELb0E19rocblas_complex_numIdEPS1_Li16ELi16EEviT3_ilPT2_i ; -- Begin function _ZL40rocblas_copy_triangular_syrk_herk_kernelILb0ELb1ELb0E19rocblas_complex_numIdEPS1_Li16ELi16EEviT3_ilPT2_i
	.p2align	8
	.type	_ZL40rocblas_copy_triangular_syrk_herk_kernelILb0ELb1ELb0E19rocblas_complex_numIdEPS1_Li16ELi16EEviT3_ilPT2_i,@function
_ZL40rocblas_copy_triangular_syrk_herk_kernelILb0ELb1ELb0E19rocblas_complex_numIdEPS1_Li16ELi16EEviT3_ilPT2_i: ; @_ZL40rocblas_copy_triangular_syrk_herk_kernelILb0ELb1ELb0E19rocblas_complex_numIdEPS1_Li16ELi16EEviT3_ilPT2_i
; %bb.0:
	s_clause 0x1
	s_load_b32 s2, s[0:1], 0x3c
	s_load_b32 s3, s[0:1], 0x0
	v_bfe_u32 v2, v0, 10, 10
	v_and_b32_e32 v3, 0x3ff, v0
	s_waitcnt lgkmcnt(0)
	s_lshr_b32 s4, s2, 16
	s_and_b32 s2, s2, 0xffff
	s_delay_alu instid0(VALU_DEP_1) | instskip(SKIP_1) | instid1(VALU_DEP_1)
	v_mad_u64_u32 v[0:1], null, s14, s4, v[2:3]
	v_mad_u64_u32 v[1:2], null, s13, s2, v[3:4]
	v_max_i32_e32 v2, v0, v1
	v_cmp_gt_i32_e64 s2, v0, v1
	s_delay_alu instid0(VALU_DEP_2) | instskip(NEXT) | instid1(VALU_DEP_2)
	v_cmp_gt_i32_e32 vcc_lo, s3, v2
	s_and_b32 s2, s2, vcc_lo
	s_delay_alu instid0(SALU_CYCLE_1)
	s_and_saveexec_b32 s4, s2
	s_cbranch_execz .LBB14_2
; %bb.1:
	v_add_nc_u32_e32 v2, -1, v0
	s_load_b128 s[4:7], s[0:1], 0x18
	s_add_i32 s2, s3, -1
	s_delay_alu instid0(SALU_CYCLE_1) | instskip(NEXT) | instid1(VALU_DEP_1)
	s_mul_hi_i32 s8, s2, s3
	v_mul_lo_u32 v2, v2, v0
	s_mul_i32 s2, s2, s3
	s_lshr_b32 s3, s8, 31
	s_delay_alu instid0(SALU_CYCLE_1) | instskip(SKIP_1) | instid1(SALU_CYCLE_1)
	s_add_u32 s2, s2, s3
	s_addc_u32 s3, s8, 0
	s_ashr_i64 s[2:3], s[2:3], 1
	s_delay_alu instid0(VALU_DEP_1)
	v_lshrrev_b32_e32 v3, 31, v2
	s_mul_i32 s3, s3, s15
	s_mul_hi_u32 s8, s2, s15
	s_mul_i32 s2, s2, s15
	s_add_i32 s3, s8, s3
	v_add_nc_u32_e32 v2, v2, v3
	s_lshl_b64 s[2:3], s[2:3], 4
	s_waitcnt lgkmcnt(0)
	s_add_u32 s2, s6, s2
	s_addc_u32 s3, s7, s3
	v_ashrrev_i32_e32 v2, 1, v2
	s_delay_alu instid0(VALU_DEP_1) | instskip(NEXT) | instid1(VALU_DEP_1)
	v_add_nc_u32_e32 v2, v2, v1
	v_ashrrev_i32_e32 v3, 31, v2
	s_delay_alu instid0(VALU_DEP_1) | instskip(NEXT) | instid1(VALU_DEP_1)
	v_lshlrev_b64 v[2:3], 4, v[2:3]
	v_add_co_u32 v2, vcc_lo, s2, v2
	s_delay_alu instid0(VALU_DEP_2)
	v_add_co_ci_u32_e32 v3, vcc_lo, s3, v3, vcc_lo
	s_mul_i32 s3, s15, s5
	global_load_b128 v[2:5], v[2:3], off
	s_clause 0x1
	s_load_b32 s2, s[0:1], 0x10
	s_load_b64 s[0:1], s[0:1], 0x8
	s_waitcnt lgkmcnt(0)
	v_mad_i64_i32 v[6:7], null, v1, s2, 0
	s_mul_hi_u32 s2, s15, s4
	v_ashrrev_i32_e32 v1, 31, v0
	s_add_i32 s3, s2, s3
	s_mul_i32 s2, s15, s4
	s_delay_alu instid0(SALU_CYCLE_1) | instskip(NEXT) | instid1(VALU_DEP_2)
	s_lshl_b64 s[2:3], s[2:3], 4
	v_lshlrev_b64 v[6:7], 4, v[6:7]
	s_add_u32 s0, s0, s2
	v_lshlrev_b64 v[0:1], 4, v[0:1]
	s_addc_u32 s1, s1, s3
	s_delay_alu instid0(VALU_DEP_2) | instskip(NEXT) | instid1(VALU_DEP_3)
	v_add_co_u32 v6, vcc_lo, s0, v6
	v_add_co_ci_u32_e32 v7, vcc_lo, s1, v7, vcc_lo
	s_delay_alu instid0(VALU_DEP_2) | instskip(NEXT) | instid1(VALU_DEP_2)
	v_add_co_u32 v0, vcc_lo, v6, v0
	v_add_co_ci_u32_e32 v1, vcc_lo, v7, v1, vcc_lo
	s_waitcnt vmcnt(0)
	global_store_b128 v[0:1], v[2:5], off
.LBB14_2:
	s_nop 0
	s_sendmsg sendmsg(MSG_DEALLOC_VGPRS)
	s_endpgm
	.section	.rodata,"a",@progbits
	.p2align	6, 0x0
	.amdhsa_kernel _ZL40rocblas_copy_triangular_syrk_herk_kernelILb0ELb1ELb0E19rocblas_complex_numIdEPS1_Li16ELi16EEviT3_ilPT2_i
		.amdhsa_group_segment_fixed_size 0
		.amdhsa_private_segment_fixed_size 0
		.amdhsa_kernarg_size 304
		.amdhsa_user_sgpr_count 13
		.amdhsa_user_sgpr_dispatch_ptr 0
		.amdhsa_user_sgpr_queue_ptr 0
		.amdhsa_user_sgpr_kernarg_segment_ptr 1
		.amdhsa_user_sgpr_dispatch_id 0
		.amdhsa_user_sgpr_private_segment_size 0
		.amdhsa_wavefront_size32 1
		.amdhsa_uses_dynamic_stack 0
		.amdhsa_enable_private_segment 0
		.amdhsa_system_sgpr_workgroup_id_x 1
		.amdhsa_system_sgpr_workgroup_id_y 1
		.amdhsa_system_sgpr_workgroup_id_z 1
		.amdhsa_system_sgpr_workgroup_info 0
		.amdhsa_system_vgpr_workitem_id 1
		.amdhsa_next_free_vgpr 8
		.amdhsa_next_free_sgpr 16
		.amdhsa_reserve_vcc 1
		.amdhsa_float_round_mode_32 0
		.amdhsa_float_round_mode_16_64 0
		.amdhsa_float_denorm_mode_32 3
		.amdhsa_float_denorm_mode_16_64 3
		.amdhsa_dx10_clamp 1
		.amdhsa_ieee_mode 1
		.amdhsa_fp16_overflow 0
		.amdhsa_workgroup_processor_mode 1
		.amdhsa_memory_ordered 1
		.amdhsa_forward_progress 0
		.amdhsa_shared_vgpr_count 0
		.amdhsa_exception_fp_ieee_invalid_op 0
		.amdhsa_exception_fp_denorm_src 0
		.amdhsa_exception_fp_ieee_div_zero 0
		.amdhsa_exception_fp_ieee_overflow 0
		.amdhsa_exception_fp_ieee_underflow 0
		.amdhsa_exception_fp_ieee_inexact 0
		.amdhsa_exception_int_div_zero 0
	.end_amdhsa_kernel
	.section	.text._ZL40rocblas_copy_triangular_syrk_herk_kernelILb0ELb1ELb0E19rocblas_complex_numIdEPS1_Li16ELi16EEviT3_ilPT2_i,"axG",@progbits,_ZL40rocblas_copy_triangular_syrk_herk_kernelILb0ELb1ELb0E19rocblas_complex_numIdEPS1_Li16ELi16EEviT3_ilPT2_i,comdat
.Lfunc_end14:
	.size	_ZL40rocblas_copy_triangular_syrk_herk_kernelILb0ELb1ELb0E19rocblas_complex_numIdEPS1_Li16ELi16EEviT3_ilPT2_i, .Lfunc_end14-_ZL40rocblas_copy_triangular_syrk_herk_kernelILb0ELb1ELb0E19rocblas_complex_numIdEPS1_Li16ELi16EEviT3_ilPT2_i
                                        ; -- End function
	.section	.AMDGPU.csdata,"",@progbits
; Kernel info:
; codeLenInByte = 400
; NumSgprs: 18
; NumVgprs: 8
; ScratchSize: 0
; MemoryBound: 0
; FloatMode: 240
; IeeeMode: 1
; LDSByteSize: 0 bytes/workgroup (compile time only)
; SGPRBlocks: 2
; VGPRBlocks: 0
; NumSGPRsForWavesPerEU: 18
; NumVGPRsForWavesPerEU: 8
; Occupancy: 16
; WaveLimiterHint : 0
; COMPUTE_PGM_RSRC2:SCRATCH_EN: 0
; COMPUTE_PGM_RSRC2:USER_SGPR: 13
; COMPUTE_PGM_RSRC2:TRAP_HANDLER: 0
; COMPUTE_PGM_RSRC2:TGID_X_EN: 1
; COMPUTE_PGM_RSRC2:TGID_Y_EN: 1
; COMPUTE_PGM_RSRC2:TGID_Z_EN: 1
; COMPUTE_PGM_RSRC2:TIDIG_COMP_CNT: 1
	.section	.text._ZL40rocblas_copy_triangular_syrk_herk_kernelILb0ELb0ELb0E19rocblas_complex_numIdEPS1_Li16ELi16EEviT3_ilPT2_i,"axG",@progbits,_ZL40rocblas_copy_triangular_syrk_herk_kernelILb0ELb0ELb0E19rocblas_complex_numIdEPS1_Li16ELi16EEviT3_ilPT2_i,comdat
	.globl	_ZL40rocblas_copy_triangular_syrk_herk_kernelILb0ELb0ELb0E19rocblas_complex_numIdEPS1_Li16ELi16EEviT3_ilPT2_i ; -- Begin function _ZL40rocblas_copy_triangular_syrk_herk_kernelILb0ELb0ELb0E19rocblas_complex_numIdEPS1_Li16ELi16EEviT3_ilPT2_i
	.p2align	8
	.type	_ZL40rocblas_copy_triangular_syrk_herk_kernelILb0ELb0ELb0E19rocblas_complex_numIdEPS1_Li16ELi16EEviT3_ilPT2_i,@function
_ZL40rocblas_copy_triangular_syrk_herk_kernelILb0ELb0ELb0E19rocblas_complex_numIdEPS1_Li16ELi16EEviT3_ilPT2_i: ; @_ZL40rocblas_copy_triangular_syrk_herk_kernelILb0ELb0ELb0E19rocblas_complex_numIdEPS1_Li16ELi16EEviT3_ilPT2_i
; %bb.0:
	s_clause 0x1
	s_load_b32 s2, s[0:1], 0x3c
	s_load_b32 s3, s[0:1], 0x0
	v_bfe_u32 v2, v0, 10, 10
	v_and_b32_e32 v3, 0x3ff, v0
	s_waitcnt lgkmcnt(0)
	s_lshr_b32 s4, s2, 16
	s_and_b32 s2, s2, 0xffff
	s_delay_alu instid0(VALU_DEP_1) | instskip(SKIP_1) | instid1(VALU_DEP_1)
	v_mad_u64_u32 v[0:1], null, s14, s4, v[2:3]
	v_mad_u64_u32 v[1:2], null, s13, s2, v[3:4]
	v_max_i32_e32 v2, v0, v1
	v_cmp_lt_i32_e64 s2, v0, v1
	s_delay_alu instid0(VALU_DEP_2) | instskip(NEXT) | instid1(VALU_DEP_2)
	v_cmp_gt_i32_e32 vcc_lo, s3, v2
	s_and_b32 s2, s2, vcc_lo
	s_delay_alu instid0(SALU_CYCLE_1)
	s_and_saveexec_b32 s4, s2
	s_cbranch_execz .LBB15_2
; %bb.1:
	v_not_b32_e32 v2, v0
	s_load_b128 s[4:7], s[0:1], 0x18
	s_add_i32 s2, s3, -1
	s_delay_alu instid0(SALU_CYCLE_1) | instskip(NEXT) | instid1(VALU_DEP_1)
	s_mul_hi_i32 s8, s2, s3
	v_lshl_add_u32 v3, s3, 1, v2
	s_mul_i32 s2, s2, s3
	s_lshr_b32 s3, s8, 31
	s_delay_alu instid0(SALU_CYCLE_1) | instskip(NEXT) | instid1(VALU_DEP_1)
	s_add_u32 s2, s2, s3
	v_mul_lo_u32 v3, v3, v0
	s_addc_u32 s3, s8, 0
	s_delay_alu instid0(SALU_CYCLE_1) | instskip(NEXT) | instid1(SALU_CYCLE_1)
	s_ashr_i64 s[2:3], s[2:3], 1
	s_mul_i32 s3, s3, s15
	s_mul_hi_u32 s8, s2, s15
	s_mul_i32 s2, s2, s15
	s_delay_alu instid0(VALU_DEP_1) | instskip(SKIP_1) | instid1(SALU_CYCLE_1)
	v_lshrrev_b32_e32 v4, 31, v3
	s_add_i32 s3, s8, s3
	s_lshl_b64 s[2:3], s[2:3], 4
	s_waitcnt lgkmcnt(0)
	s_add_u32 s2, s6, s2
	v_add_nc_u32_e32 v3, v3, v4
	s_addc_u32 s3, s7, s3
	s_delay_alu instid0(VALU_DEP_1) | instskip(NEXT) | instid1(VALU_DEP_1)
	v_ashrrev_i32_e32 v3, 1, v3
	v_add3_u32 v2, v1, v2, v3
	s_delay_alu instid0(VALU_DEP_1) | instskip(NEXT) | instid1(VALU_DEP_1)
	v_ashrrev_i32_e32 v3, 31, v2
	v_lshlrev_b64 v[2:3], 4, v[2:3]
	s_delay_alu instid0(VALU_DEP_1) | instskip(NEXT) | instid1(VALU_DEP_2)
	v_add_co_u32 v2, vcc_lo, s2, v2
	v_add_co_ci_u32_e32 v3, vcc_lo, s3, v3, vcc_lo
	s_mul_i32 s3, s15, s5
	global_load_b128 v[2:5], v[2:3], off
	s_clause 0x1
	s_load_b32 s2, s[0:1], 0x10
	s_load_b64 s[0:1], s[0:1], 0x8
	s_waitcnt lgkmcnt(0)
	v_mad_i64_i32 v[6:7], null, v1, s2, 0
	s_mul_hi_u32 s2, s15, s4
	v_ashrrev_i32_e32 v1, 31, v0
	s_add_i32 s3, s2, s3
	s_mul_i32 s2, s15, s4
	s_delay_alu instid0(SALU_CYCLE_1) | instskip(NEXT) | instid1(VALU_DEP_2)
	s_lshl_b64 s[2:3], s[2:3], 4
	v_lshlrev_b64 v[6:7], 4, v[6:7]
	s_add_u32 s0, s0, s2
	v_lshlrev_b64 v[0:1], 4, v[0:1]
	s_addc_u32 s1, s1, s3
	s_delay_alu instid0(VALU_DEP_2) | instskip(NEXT) | instid1(VALU_DEP_3)
	v_add_co_u32 v6, vcc_lo, s0, v6
	v_add_co_ci_u32_e32 v7, vcc_lo, s1, v7, vcc_lo
	s_delay_alu instid0(VALU_DEP_2) | instskip(NEXT) | instid1(VALU_DEP_2)
	v_add_co_u32 v0, vcc_lo, v6, v0
	v_add_co_ci_u32_e32 v1, vcc_lo, v7, v1, vcc_lo
	s_waitcnt vmcnt(0)
	global_store_b128 v[0:1], v[2:5], off
.LBB15_2:
	s_nop 0
	s_sendmsg sendmsg(MSG_DEALLOC_VGPRS)
	s_endpgm
	.section	.rodata,"a",@progbits
	.p2align	6, 0x0
	.amdhsa_kernel _ZL40rocblas_copy_triangular_syrk_herk_kernelILb0ELb0ELb0E19rocblas_complex_numIdEPS1_Li16ELi16EEviT3_ilPT2_i
		.amdhsa_group_segment_fixed_size 0
		.amdhsa_private_segment_fixed_size 0
		.amdhsa_kernarg_size 304
		.amdhsa_user_sgpr_count 13
		.amdhsa_user_sgpr_dispatch_ptr 0
		.amdhsa_user_sgpr_queue_ptr 0
		.amdhsa_user_sgpr_kernarg_segment_ptr 1
		.amdhsa_user_sgpr_dispatch_id 0
		.amdhsa_user_sgpr_private_segment_size 0
		.amdhsa_wavefront_size32 1
		.amdhsa_uses_dynamic_stack 0
		.amdhsa_enable_private_segment 0
		.amdhsa_system_sgpr_workgroup_id_x 1
		.amdhsa_system_sgpr_workgroup_id_y 1
		.amdhsa_system_sgpr_workgroup_id_z 1
		.amdhsa_system_sgpr_workgroup_info 0
		.amdhsa_system_vgpr_workitem_id 1
		.amdhsa_next_free_vgpr 8
		.amdhsa_next_free_sgpr 16
		.amdhsa_reserve_vcc 1
		.amdhsa_float_round_mode_32 0
		.amdhsa_float_round_mode_16_64 0
		.amdhsa_float_denorm_mode_32 3
		.amdhsa_float_denorm_mode_16_64 3
		.amdhsa_dx10_clamp 1
		.amdhsa_ieee_mode 1
		.amdhsa_fp16_overflow 0
		.amdhsa_workgroup_processor_mode 1
		.amdhsa_memory_ordered 1
		.amdhsa_forward_progress 0
		.amdhsa_shared_vgpr_count 0
		.amdhsa_exception_fp_ieee_invalid_op 0
		.amdhsa_exception_fp_denorm_src 0
		.amdhsa_exception_fp_ieee_div_zero 0
		.amdhsa_exception_fp_ieee_overflow 0
		.amdhsa_exception_fp_ieee_underflow 0
		.amdhsa_exception_fp_ieee_inexact 0
		.amdhsa_exception_int_div_zero 0
	.end_amdhsa_kernel
	.section	.text._ZL40rocblas_copy_triangular_syrk_herk_kernelILb0ELb0ELb0E19rocblas_complex_numIdEPS1_Li16ELi16EEviT3_ilPT2_i,"axG",@progbits,_ZL40rocblas_copy_triangular_syrk_herk_kernelILb0ELb0ELb0E19rocblas_complex_numIdEPS1_Li16ELi16EEviT3_ilPT2_i,comdat
.Lfunc_end15:
	.size	_ZL40rocblas_copy_triangular_syrk_herk_kernelILb0ELb0ELb0E19rocblas_complex_numIdEPS1_Li16ELi16EEviT3_ilPT2_i, .Lfunc_end15-_ZL40rocblas_copy_triangular_syrk_herk_kernelILb0ELb0ELb0E19rocblas_complex_numIdEPS1_Li16ELi16EEviT3_ilPT2_i
                                        ; -- End function
	.section	.AMDGPU.csdata,"",@progbits
; Kernel info:
; codeLenInByte = 416
; NumSgprs: 18
; NumVgprs: 8
; ScratchSize: 0
; MemoryBound: 0
; FloatMode: 240
; IeeeMode: 1
; LDSByteSize: 0 bytes/workgroup (compile time only)
; SGPRBlocks: 2
; VGPRBlocks: 0
; NumSGPRsForWavesPerEU: 18
; NumVGPRsForWavesPerEU: 8
; Occupancy: 16
; WaveLimiterHint : 0
; COMPUTE_PGM_RSRC2:SCRATCH_EN: 0
; COMPUTE_PGM_RSRC2:USER_SGPR: 13
; COMPUTE_PGM_RSRC2:TRAP_HANDLER: 0
; COMPUTE_PGM_RSRC2:TGID_X_EN: 1
; COMPUTE_PGM_RSRC2:TGID_Y_EN: 1
; COMPUTE_PGM_RSRC2:TGID_Z_EN: 1
; COMPUTE_PGM_RSRC2:TIDIG_COMP_CNT: 1
	.section	.text._ZL40rocblas_copy_triangular_syrk_herk_kernelILb1ELb1ELb0EfPKPfLi16ELi16EEviT3_ilPT2_i,"axG",@progbits,_ZL40rocblas_copy_triangular_syrk_herk_kernelILb1ELb1ELb0EfPKPfLi16ELi16EEviT3_ilPT2_i,comdat
	.globl	_ZL40rocblas_copy_triangular_syrk_herk_kernelILb1ELb1ELb0EfPKPfLi16ELi16EEviT3_ilPT2_i ; -- Begin function _ZL40rocblas_copy_triangular_syrk_herk_kernelILb1ELb1ELb0EfPKPfLi16ELi16EEviT3_ilPT2_i
	.p2align	8
	.type	_ZL40rocblas_copy_triangular_syrk_herk_kernelILb1ELb1ELb0EfPKPfLi16ELi16EEviT3_ilPT2_i,@function
_ZL40rocblas_copy_triangular_syrk_herk_kernelILb1ELb1ELb0EfPKPfLi16ELi16EEviT3_ilPT2_i: ; @_ZL40rocblas_copy_triangular_syrk_herk_kernelILb1ELb1ELb0EfPKPfLi16ELi16EEviT3_ilPT2_i
; %bb.0:
	s_clause 0x1
	s_load_b32 s2, s[0:1], 0x3c
	s_load_b32 s3, s[0:1], 0x0
	v_bfe_u32 v1, v0, 10, 10
	v_and_b32_e32 v4, 0x3ff, v0
	s_waitcnt lgkmcnt(0)
	s_lshr_b32 s5, s2, 16
	s_and_b32 s2, s2, 0xffff
	v_mad_u64_u32 v[2:3], null, s14, s5, v[1:2]
	v_mad_u64_u32 v[0:1], null, s13, s2, v[4:5]
	s_delay_alu instid0(VALU_DEP_1) | instskip(SKIP_1) | instid1(VALU_DEP_2)
	v_max_i32_e32 v1, v2, v0
	v_cmp_gt_i32_e64 s2, v2, v0
	v_cmp_gt_i32_e32 vcc_lo, s3, v1
	s_delay_alu instid0(VALU_DEP_2) | instskip(NEXT) | instid1(SALU_CYCLE_1)
	s_and_b32 s2, s2, vcc_lo
	s_and_saveexec_b32 s5, s2
	s_cbranch_execz .LBB16_2
; %bb.1:
	s_clause 0x1
	s_load_b64 s[6:7], s[0:1], 0x20
	s_load_b32 s10, s[0:1], 0x10
	s_add_i32 s2, s3, -1
	s_load_b64 s[8:9], s[0:1], 0x8
	s_mul_hi_i32 s5, s2, s3
	s_mul_i32 s2, s2, s3
	s_lshr_b32 s3, s5, 31
	s_mov_b32 s4, s15
	s_add_u32 s2, s2, s3
	s_addc_u32 s3, s5, 0
	s_mov_b32 s5, 0
	s_ashr_i64 s[2:3], s[2:3], 1
	v_ashrrev_i32_e32 v3, 31, v2
	s_mul_i32 s1, s3, s15
	s_mul_hi_u32 s3, s2, s15
	s_mul_i32 s0, s2, s15
	s_add_i32 s1, s3, s1
	v_lshlrev_b64 v[6:7], 2, v[2:3]
	s_lshl_b64 s[0:1], s[0:1], 2
	s_waitcnt lgkmcnt(0)
	s_add_u32 s2, s6, s0
	s_addc_u32 s3, s7, s1
	s_lshl_b64 s[0:1], s[4:5], 3
	v_mad_i64_i32 v[4:5], null, v0, s10, 0
	s_add_u32 s0, s8, s0
	s_addc_u32 s1, s9, s1
	s_load_b64 s[0:1], s[0:1], 0x0
	s_delay_alu instid0(VALU_DEP_1) | instskip(SKIP_1) | instid1(VALU_DEP_1)
	v_lshlrev_b64 v[4:5], 2, v[4:5]
	s_waitcnt lgkmcnt(0)
	v_add_co_u32 v1, vcc_lo, s0, v4
	s_delay_alu instid0(VALU_DEP_2) | instskip(NEXT) | instid1(VALU_DEP_2)
	v_add_co_ci_u32_e32 v4, vcc_lo, s1, v5, vcc_lo
	v_add_co_u32 v3, vcc_lo, v1, v6
	s_delay_alu instid0(VALU_DEP_2) | instskip(SKIP_3) | instid1(VALU_DEP_1)
	v_add_co_ci_u32_e32 v4, vcc_lo, v4, v7, vcc_lo
	v_add_nc_u32_e32 v1, -1, v2
	global_load_b32 v3, v[3:4], off
	v_mul_lo_u32 v1, v1, v2
	v_lshrrev_b32_e32 v2, 31, v1
	s_delay_alu instid0(VALU_DEP_1) | instskip(NEXT) | instid1(VALU_DEP_1)
	v_add_nc_u32_e32 v1, v1, v2
	v_ashrrev_i32_e32 v1, 1, v1
	s_delay_alu instid0(VALU_DEP_1) | instskip(NEXT) | instid1(VALU_DEP_1)
	v_add_nc_u32_e32 v0, v1, v0
	v_ashrrev_i32_e32 v1, 31, v0
	s_delay_alu instid0(VALU_DEP_1) | instskip(NEXT) | instid1(VALU_DEP_1)
	v_lshlrev_b64 v[0:1], 2, v[0:1]
	v_add_co_u32 v0, vcc_lo, s2, v0
	s_delay_alu instid0(VALU_DEP_2)
	v_add_co_ci_u32_e32 v1, vcc_lo, s3, v1, vcc_lo
	s_waitcnt vmcnt(0)
	global_store_b32 v[0:1], v3, off
.LBB16_2:
	s_nop 0
	s_sendmsg sendmsg(MSG_DEALLOC_VGPRS)
	s_endpgm
	.section	.rodata,"a",@progbits
	.p2align	6, 0x0
	.amdhsa_kernel _ZL40rocblas_copy_triangular_syrk_herk_kernelILb1ELb1ELb0EfPKPfLi16ELi16EEviT3_ilPT2_i
		.amdhsa_group_segment_fixed_size 0
		.amdhsa_private_segment_fixed_size 0
		.amdhsa_kernarg_size 304
		.amdhsa_user_sgpr_count 13
		.amdhsa_user_sgpr_dispatch_ptr 0
		.amdhsa_user_sgpr_queue_ptr 0
		.amdhsa_user_sgpr_kernarg_segment_ptr 1
		.amdhsa_user_sgpr_dispatch_id 0
		.amdhsa_user_sgpr_private_segment_size 0
		.amdhsa_wavefront_size32 1
		.amdhsa_uses_dynamic_stack 0
		.amdhsa_enable_private_segment 0
		.amdhsa_system_sgpr_workgroup_id_x 1
		.amdhsa_system_sgpr_workgroup_id_y 1
		.amdhsa_system_sgpr_workgroup_id_z 1
		.amdhsa_system_sgpr_workgroup_info 0
		.amdhsa_system_vgpr_workitem_id 1
		.amdhsa_next_free_vgpr 8
		.amdhsa_next_free_sgpr 16
		.amdhsa_reserve_vcc 1
		.amdhsa_float_round_mode_32 0
		.amdhsa_float_round_mode_16_64 0
		.amdhsa_float_denorm_mode_32 3
		.amdhsa_float_denorm_mode_16_64 3
		.amdhsa_dx10_clamp 1
		.amdhsa_ieee_mode 1
		.amdhsa_fp16_overflow 0
		.amdhsa_workgroup_processor_mode 1
		.amdhsa_memory_ordered 1
		.amdhsa_forward_progress 0
		.amdhsa_shared_vgpr_count 0
		.amdhsa_exception_fp_ieee_invalid_op 0
		.amdhsa_exception_fp_denorm_src 0
		.amdhsa_exception_fp_ieee_div_zero 0
		.amdhsa_exception_fp_ieee_overflow 0
		.amdhsa_exception_fp_ieee_underflow 0
		.amdhsa_exception_fp_ieee_inexact 0
		.amdhsa_exception_int_div_zero 0
	.end_amdhsa_kernel
	.section	.text._ZL40rocblas_copy_triangular_syrk_herk_kernelILb1ELb1ELb0EfPKPfLi16ELi16EEviT3_ilPT2_i,"axG",@progbits,_ZL40rocblas_copy_triangular_syrk_herk_kernelILb1ELb1ELb0EfPKPfLi16ELi16EEviT3_ilPT2_i,comdat
.Lfunc_end16:
	.size	_ZL40rocblas_copy_triangular_syrk_herk_kernelILb1ELb1ELb0EfPKPfLi16ELi16EEviT3_ilPT2_i, .Lfunc_end16-_ZL40rocblas_copy_triangular_syrk_herk_kernelILb1ELb1ELb0EfPKPfLi16ELi16EEviT3_ilPT2_i
                                        ; -- End function
	.section	.AMDGPU.csdata,"",@progbits
; Kernel info:
; codeLenInByte = 388
; NumSgprs: 18
; NumVgprs: 8
; ScratchSize: 0
; MemoryBound: 0
; FloatMode: 240
; IeeeMode: 1
; LDSByteSize: 0 bytes/workgroup (compile time only)
; SGPRBlocks: 2
; VGPRBlocks: 0
; NumSGPRsForWavesPerEU: 18
; NumVGPRsForWavesPerEU: 8
; Occupancy: 16
; WaveLimiterHint : 1
; COMPUTE_PGM_RSRC2:SCRATCH_EN: 0
; COMPUTE_PGM_RSRC2:USER_SGPR: 13
; COMPUTE_PGM_RSRC2:TRAP_HANDLER: 0
; COMPUTE_PGM_RSRC2:TGID_X_EN: 1
; COMPUTE_PGM_RSRC2:TGID_Y_EN: 1
; COMPUTE_PGM_RSRC2:TGID_Z_EN: 1
; COMPUTE_PGM_RSRC2:TIDIG_COMP_CNT: 1
	.section	.text._ZL40rocblas_copy_triangular_syrk_herk_kernelILb1ELb0ELb0EfPKPfLi16ELi16EEviT3_ilPT2_i,"axG",@progbits,_ZL40rocblas_copy_triangular_syrk_herk_kernelILb1ELb0ELb0EfPKPfLi16ELi16EEviT3_ilPT2_i,comdat
	.globl	_ZL40rocblas_copy_triangular_syrk_herk_kernelILb1ELb0ELb0EfPKPfLi16ELi16EEviT3_ilPT2_i ; -- Begin function _ZL40rocblas_copy_triangular_syrk_herk_kernelILb1ELb0ELb0EfPKPfLi16ELi16EEviT3_ilPT2_i
	.p2align	8
	.type	_ZL40rocblas_copy_triangular_syrk_herk_kernelILb1ELb0ELb0EfPKPfLi16ELi16EEviT3_ilPT2_i,@function
_ZL40rocblas_copy_triangular_syrk_herk_kernelILb1ELb0ELb0EfPKPfLi16ELi16EEviT3_ilPT2_i: ; @_ZL40rocblas_copy_triangular_syrk_herk_kernelILb1ELb0ELb0EfPKPfLi16ELi16EEviT3_ilPT2_i
; %bb.0:
	s_clause 0x1
	s_load_b32 s2, s[0:1], 0x3c
	s_load_b32 s3, s[0:1], 0x0
	v_bfe_u32 v1, v0, 10, 10
	v_and_b32_e32 v4, 0x3ff, v0
	s_waitcnt lgkmcnt(0)
	s_lshr_b32 s5, s2, 16
	s_and_b32 s2, s2, 0xffff
	v_mad_u64_u32 v[2:3], null, s14, s5, v[1:2]
	v_mad_u64_u32 v[0:1], null, s13, s2, v[4:5]
	s_delay_alu instid0(VALU_DEP_1) | instskip(SKIP_1) | instid1(VALU_DEP_2)
	v_max_i32_e32 v1, v2, v0
	v_cmp_lt_i32_e64 s2, v2, v0
	v_cmp_gt_i32_e32 vcc_lo, s3, v1
	s_delay_alu instid0(VALU_DEP_2) | instskip(NEXT) | instid1(SALU_CYCLE_1)
	s_and_b32 s2, s2, vcc_lo
	s_and_saveexec_b32 s5, s2
	s_cbranch_execz .LBB17_2
; %bb.1:
	s_load_b64 s[6:7], s[0:1], 0x20
	s_add_i32 s2, s3, -1
	s_load_b64 s[8:9], s[0:1], 0x8
	s_mul_hi_i32 s5, s2, s3
	s_mul_i32 s2, s2, s3
	s_lshr_b32 s10, s5, 31
	s_mov_b32 s4, s15
	s_add_u32 s10, s2, s10
	s_load_b32 s2, s[0:1], 0x10
	s_addc_u32 s11, s5, 0
	v_ashrrev_i32_e32 v3, 31, v2
	s_ashr_i64 s[10:11], s[10:11], 1
	s_delay_alu instid0(SALU_CYCLE_1)
	s_mul_i32 s1, s11, s15
	s_mul_hi_u32 s5, s10, s15
	s_mul_i32 s0, s10, s15
	s_add_i32 s1, s5, s1
	s_mov_b32 s5, 0
	s_lshl_b64 s[0:1], s[0:1], 2
	v_lshlrev_b64 v[6:7], 2, v[2:3]
	s_waitcnt lgkmcnt(0)
	s_add_u32 s6, s6, s0
	s_addc_u32 s7, s7, s1
	s_lshl_b64 s[0:1], s[4:5], 3
	s_delay_alu instid0(SALU_CYCLE_1) | instskip(SKIP_3) | instid1(VALU_DEP_1)
	s_add_u32 s0, s8, s0
	s_addc_u32 s1, s9, s1
	s_load_b64 s[0:1], s[0:1], 0x0
	v_mad_i64_i32 v[4:5], null, v0, s2, 0
	v_lshlrev_b64 v[4:5], 2, v[4:5]
	s_waitcnt lgkmcnt(0)
	s_delay_alu instid0(VALU_DEP_1) | instskip(NEXT) | instid1(VALU_DEP_2)
	v_add_co_u32 v1, vcc_lo, s0, v4
	v_add_co_ci_u32_e32 v4, vcc_lo, s1, v5, vcc_lo
	s_delay_alu instid0(VALU_DEP_2) | instskip(NEXT) | instid1(VALU_DEP_2)
	v_add_co_u32 v3, vcc_lo, v1, v6
	v_add_co_ci_u32_e32 v4, vcc_lo, v4, v7, vcc_lo
	v_not_b32_e32 v1, v2
	global_load_b32 v3, v[3:4], off
	v_lshl_add_u32 v4, s3, 1, v1
	s_delay_alu instid0(VALU_DEP_1) | instskip(NEXT) | instid1(VALU_DEP_1)
	v_mul_lo_u32 v2, v4, v2
	v_lshrrev_b32_e32 v4, 31, v2
	s_delay_alu instid0(VALU_DEP_1) | instskip(NEXT) | instid1(VALU_DEP_1)
	v_add_nc_u32_e32 v2, v2, v4
	v_ashrrev_i32_e32 v2, 1, v2
	s_delay_alu instid0(VALU_DEP_1) | instskip(NEXT) | instid1(VALU_DEP_1)
	v_add3_u32 v0, v0, v1, v2
	v_ashrrev_i32_e32 v1, 31, v0
	s_delay_alu instid0(VALU_DEP_1) | instskip(NEXT) | instid1(VALU_DEP_1)
	v_lshlrev_b64 v[0:1], 2, v[0:1]
	v_add_co_u32 v0, vcc_lo, s6, v0
	s_delay_alu instid0(VALU_DEP_2)
	v_add_co_ci_u32_e32 v1, vcc_lo, s7, v1, vcc_lo
	s_waitcnt vmcnt(0)
	global_store_b32 v[0:1], v3, off
.LBB17_2:
	s_nop 0
	s_sendmsg sendmsg(MSG_DEALLOC_VGPRS)
	s_endpgm
	.section	.rodata,"a",@progbits
	.p2align	6, 0x0
	.amdhsa_kernel _ZL40rocblas_copy_triangular_syrk_herk_kernelILb1ELb0ELb0EfPKPfLi16ELi16EEviT3_ilPT2_i
		.amdhsa_group_segment_fixed_size 0
		.amdhsa_private_segment_fixed_size 0
		.amdhsa_kernarg_size 304
		.amdhsa_user_sgpr_count 13
		.amdhsa_user_sgpr_dispatch_ptr 0
		.amdhsa_user_sgpr_queue_ptr 0
		.amdhsa_user_sgpr_kernarg_segment_ptr 1
		.amdhsa_user_sgpr_dispatch_id 0
		.amdhsa_user_sgpr_private_segment_size 0
		.amdhsa_wavefront_size32 1
		.amdhsa_uses_dynamic_stack 0
		.amdhsa_enable_private_segment 0
		.amdhsa_system_sgpr_workgroup_id_x 1
		.amdhsa_system_sgpr_workgroup_id_y 1
		.amdhsa_system_sgpr_workgroup_id_z 1
		.amdhsa_system_sgpr_workgroup_info 0
		.amdhsa_system_vgpr_workitem_id 1
		.amdhsa_next_free_vgpr 8
		.amdhsa_next_free_sgpr 16
		.amdhsa_reserve_vcc 1
		.amdhsa_float_round_mode_32 0
		.amdhsa_float_round_mode_16_64 0
		.amdhsa_float_denorm_mode_32 3
		.amdhsa_float_denorm_mode_16_64 3
		.amdhsa_dx10_clamp 1
		.amdhsa_ieee_mode 1
		.amdhsa_fp16_overflow 0
		.amdhsa_workgroup_processor_mode 1
		.amdhsa_memory_ordered 1
		.amdhsa_forward_progress 0
		.amdhsa_shared_vgpr_count 0
		.amdhsa_exception_fp_ieee_invalid_op 0
		.amdhsa_exception_fp_denorm_src 0
		.amdhsa_exception_fp_ieee_div_zero 0
		.amdhsa_exception_fp_ieee_overflow 0
		.amdhsa_exception_fp_ieee_underflow 0
		.amdhsa_exception_fp_ieee_inexact 0
		.amdhsa_exception_int_div_zero 0
	.end_amdhsa_kernel
	.section	.text._ZL40rocblas_copy_triangular_syrk_herk_kernelILb1ELb0ELb0EfPKPfLi16ELi16EEviT3_ilPT2_i,"axG",@progbits,_ZL40rocblas_copy_triangular_syrk_herk_kernelILb1ELb0ELb0EfPKPfLi16ELi16EEviT3_ilPT2_i,comdat
.Lfunc_end17:
	.size	_ZL40rocblas_copy_triangular_syrk_herk_kernelILb1ELb0ELb0EfPKPfLi16ELi16EEviT3_ilPT2_i, .Lfunc_end17-_ZL40rocblas_copy_triangular_syrk_herk_kernelILb1ELb0ELb0EfPKPfLi16ELi16EEviT3_ilPT2_i
                                        ; -- End function
	.section	.AMDGPU.csdata,"",@progbits
; Kernel info:
; codeLenInByte = 404
; NumSgprs: 18
; NumVgprs: 8
; ScratchSize: 0
; MemoryBound: 0
; FloatMode: 240
; IeeeMode: 1
; LDSByteSize: 0 bytes/workgroup (compile time only)
; SGPRBlocks: 2
; VGPRBlocks: 0
; NumSGPRsForWavesPerEU: 18
; NumVGPRsForWavesPerEU: 8
; Occupancy: 16
; WaveLimiterHint : 1
; COMPUTE_PGM_RSRC2:SCRATCH_EN: 0
; COMPUTE_PGM_RSRC2:USER_SGPR: 13
; COMPUTE_PGM_RSRC2:TRAP_HANDLER: 0
; COMPUTE_PGM_RSRC2:TGID_X_EN: 1
; COMPUTE_PGM_RSRC2:TGID_Y_EN: 1
; COMPUTE_PGM_RSRC2:TGID_Z_EN: 1
; COMPUTE_PGM_RSRC2:TIDIG_COMP_CNT: 1
	.section	.text._ZL40rocblas_copy_triangular_syrk_herk_kernelILb0ELb1ELb0EfPKPfLi16ELi16EEviT3_ilPT2_i,"axG",@progbits,_ZL40rocblas_copy_triangular_syrk_herk_kernelILb0ELb1ELb0EfPKPfLi16ELi16EEviT3_ilPT2_i,comdat
	.globl	_ZL40rocblas_copy_triangular_syrk_herk_kernelILb0ELb1ELb0EfPKPfLi16ELi16EEviT3_ilPT2_i ; -- Begin function _ZL40rocblas_copy_triangular_syrk_herk_kernelILb0ELb1ELb0EfPKPfLi16ELi16EEviT3_ilPT2_i
	.p2align	8
	.type	_ZL40rocblas_copy_triangular_syrk_herk_kernelILb0ELb1ELb0EfPKPfLi16ELi16EEviT3_ilPT2_i,@function
_ZL40rocblas_copy_triangular_syrk_herk_kernelILb0ELb1ELb0EfPKPfLi16ELi16EEviT3_ilPT2_i: ; @_ZL40rocblas_copy_triangular_syrk_herk_kernelILb0ELb1ELb0EfPKPfLi16ELi16EEviT3_ilPT2_i
; %bb.0:
	s_clause 0x1
	s_load_b32 s2, s[0:1], 0x3c
	s_load_b32 s3, s[0:1], 0x0
	v_bfe_u32 v2, v0, 10, 10
	v_and_b32_e32 v3, 0x3ff, v0
	s_waitcnt lgkmcnt(0)
	s_lshr_b32 s5, s2, 16
	s_and_b32 s2, s2, 0xffff
	s_delay_alu instid0(VALU_DEP_1) | instskip(SKIP_1) | instid1(VALU_DEP_1)
	v_mad_u64_u32 v[0:1], null, s14, s5, v[2:3]
	v_mad_u64_u32 v[1:2], null, s13, s2, v[3:4]
	v_max_i32_e32 v2, v0, v1
	v_cmp_gt_i32_e64 s2, v0, v1
	s_delay_alu instid0(VALU_DEP_2) | instskip(NEXT) | instid1(VALU_DEP_2)
	v_cmp_gt_i32_e32 vcc_lo, s3, v2
	s_and_b32 s2, s2, vcc_lo
	s_delay_alu instid0(SALU_CYCLE_1)
	s_and_saveexec_b32 s5, s2
	s_cbranch_execz .LBB18_2
; %bb.1:
	v_add_nc_u32_e32 v2, -1, v0
	s_load_b64 s[6:7], s[0:1], 0x20
	s_add_i32 s2, s3, -1
	s_mov_b32 s4, s15
	s_mul_hi_i32 s5, s2, s3
	v_mul_lo_u32 v2, v2, v0
	s_mul_i32 s2, s2, s3
	s_lshr_b32 s3, s5, 31
	s_delay_alu instid0(SALU_CYCLE_1) | instskip(SKIP_1) | instid1(SALU_CYCLE_1)
	s_add_u32 s2, s2, s3
	s_addc_u32 s3, s5, 0
	s_ashr_i64 s[2:3], s[2:3], 1
	s_delay_alu instid0(VALU_DEP_1)
	v_lshrrev_b32_e32 v3, 31, v2
	s_mul_i32 s3, s3, s15
	s_mul_hi_u32 s5, s2, s15
	s_mul_i32 s2, s2, s15
	s_add_i32 s3, s5, s3
	v_add_nc_u32_e32 v2, v2, v3
	s_lshl_b64 s[2:3], s[2:3], 2
	s_mov_b32 s5, 0
	s_waitcnt lgkmcnt(0)
	s_add_u32 s2, s6, s2
	s_addc_u32 s3, s7, s3
	v_ashrrev_i32_e32 v2, 1, v2
	s_delay_alu instid0(VALU_DEP_1) | instskip(NEXT) | instid1(VALU_DEP_1)
	v_add_nc_u32_e32 v2, v2, v1
	v_ashrrev_i32_e32 v3, 31, v2
	s_delay_alu instid0(VALU_DEP_1) | instskip(NEXT) | instid1(VALU_DEP_1)
	v_lshlrev_b64 v[2:3], 2, v[2:3]
	v_add_co_u32 v2, vcc_lo, s2, v2
	s_delay_alu instid0(VALU_DEP_2)
	v_add_co_ci_u32_e32 v3, vcc_lo, s3, v3, vcc_lo
	global_load_b32 v4, v[2:3], off
	s_clause 0x1
	s_load_b64 s[2:3], s[0:1], 0x8
	s_load_b32 s6, s[0:1], 0x10
	s_lshl_b64 s[0:1], s[4:5], 3
	s_waitcnt lgkmcnt(0)
	s_add_u32 s0, s2, s0
	s_addc_u32 s1, s3, s1
	v_mad_i64_i32 v[2:3], null, v1, s6, 0
	s_load_b64 s[0:1], s[0:1], 0x0
	v_ashrrev_i32_e32 v1, 31, v0
	s_delay_alu instid0(VALU_DEP_1) | instskip(NEXT) | instid1(VALU_DEP_3)
	v_lshlrev_b64 v[0:1], 2, v[0:1]
	v_lshlrev_b64 v[2:3], 2, v[2:3]
	s_waitcnt lgkmcnt(0)
	s_delay_alu instid0(VALU_DEP_1) | instskip(NEXT) | instid1(VALU_DEP_2)
	v_add_co_u32 v2, vcc_lo, s0, v2
	v_add_co_ci_u32_e32 v3, vcc_lo, s1, v3, vcc_lo
	s_delay_alu instid0(VALU_DEP_2) | instskip(NEXT) | instid1(VALU_DEP_2)
	v_add_co_u32 v0, vcc_lo, v2, v0
	v_add_co_ci_u32_e32 v1, vcc_lo, v3, v1, vcc_lo
	s_waitcnt vmcnt(0)
	global_store_b32 v[0:1], v4, off
.LBB18_2:
	s_nop 0
	s_sendmsg sendmsg(MSG_DEALLOC_VGPRS)
	s_endpgm
	.section	.rodata,"a",@progbits
	.p2align	6, 0x0
	.amdhsa_kernel _ZL40rocblas_copy_triangular_syrk_herk_kernelILb0ELb1ELb0EfPKPfLi16ELi16EEviT3_ilPT2_i
		.amdhsa_group_segment_fixed_size 0
		.amdhsa_private_segment_fixed_size 0
		.amdhsa_kernarg_size 304
		.amdhsa_user_sgpr_count 13
		.amdhsa_user_sgpr_dispatch_ptr 0
		.amdhsa_user_sgpr_queue_ptr 0
		.amdhsa_user_sgpr_kernarg_segment_ptr 1
		.amdhsa_user_sgpr_dispatch_id 0
		.amdhsa_user_sgpr_private_segment_size 0
		.amdhsa_wavefront_size32 1
		.amdhsa_uses_dynamic_stack 0
		.amdhsa_enable_private_segment 0
		.amdhsa_system_sgpr_workgroup_id_x 1
		.amdhsa_system_sgpr_workgroup_id_y 1
		.amdhsa_system_sgpr_workgroup_id_z 1
		.amdhsa_system_sgpr_workgroup_info 0
		.amdhsa_system_vgpr_workitem_id 1
		.amdhsa_next_free_vgpr 5
		.amdhsa_next_free_sgpr 16
		.amdhsa_reserve_vcc 1
		.amdhsa_float_round_mode_32 0
		.amdhsa_float_round_mode_16_64 0
		.amdhsa_float_denorm_mode_32 3
		.amdhsa_float_denorm_mode_16_64 3
		.amdhsa_dx10_clamp 1
		.amdhsa_ieee_mode 1
		.amdhsa_fp16_overflow 0
		.amdhsa_workgroup_processor_mode 1
		.amdhsa_memory_ordered 1
		.amdhsa_forward_progress 0
		.amdhsa_shared_vgpr_count 0
		.amdhsa_exception_fp_ieee_invalid_op 0
		.amdhsa_exception_fp_denorm_src 0
		.amdhsa_exception_fp_ieee_div_zero 0
		.amdhsa_exception_fp_ieee_overflow 0
		.amdhsa_exception_fp_ieee_underflow 0
		.amdhsa_exception_fp_ieee_inexact 0
		.amdhsa_exception_int_div_zero 0
	.end_amdhsa_kernel
	.section	.text._ZL40rocblas_copy_triangular_syrk_herk_kernelILb0ELb1ELb0EfPKPfLi16ELi16EEviT3_ilPT2_i,"axG",@progbits,_ZL40rocblas_copy_triangular_syrk_herk_kernelILb0ELb1ELb0EfPKPfLi16ELi16EEviT3_ilPT2_i,comdat
.Lfunc_end18:
	.size	_ZL40rocblas_copy_triangular_syrk_herk_kernelILb0ELb1ELb0EfPKPfLi16ELi16EEviT3_ilPT2_i, .Lfunc_end18-_ZL40rocblas_copy_triangular_syrk_herk_kernelILb0ELb1ELb0EfPKPfLi16ELi16EEviT3_ilPT2_i
                                        ; -- End function
	.section	.AMDGPU.csdata,"",@progbits
; Kernel info:
; codeLenInByte = 400
; NumSgprs: 18
; NumVgprs: 5
; ScratchSize: 0
; MemoryBound: 0
; FloatMode: 240
; IeeeMode: 1
; LDSByteSize: 0 bytes/workgroup (compile time only)
; SGPRBlocks: 2
; VGPRBlocks: 0
; NumSGPRsForWavesPerEU: 18
; NumVGPRsForWavesPerEU: 5
; Occupancy: 16
; WaveLimiterHint : 1
; COMPUTE_PGM_RSRC2:SCRATCH_EN: 0
; COMPUTE_PGM_RSRC2:USER_SGPR: 13
; COMPUTE_PGM_RSRC2:TRAP_HANDLER: 0
; COMPUTE_PGM_RSRC2:TGID_X_EN: 1
; COMPUTE_PGM_RSRC2:TGID_Y_EN: 1
; COMPUTE_PGM_RSRC2:TGID_Z_EN: 1
; COMPUTE_PGM_RSRC2:TIDIG_COMP_CNT: 1
	.section	.text._ZL40rocblas_copy_triangular_syrk_herk_kernelILb0ELb0ELb0EfPKPfLi16ELi16EEviT3_ilPT2_i,"axG",@progbits,_ZL40rocblas_copy_triangular_syrk_herk_kernelILb0ELb0ELb0EfPKPfLi16ELi16EEviT3_ilPT2_i,comdat
	.globl	_ZL40rocblas_copy_triangular_syrk_herk_kernelILb0ELb0ELb0EfPKPfLi16ELi16EEviT3_ilPT2_i ; -- Begin function _ZL40rocblas_copy_triangular_syrk_herk_kernelILb0ELb0ELb0EfPKPfLi16ELi16EEviT3_ilPT2_i
	.p2align	8
	.type	_ZL40rocblas_copy_triangular_syrk_herk_kernelILb0ELb0ELb0EfPKPfLi16ELi16EEviT3_ilPT2_i,@function
_ZL40rocblas_copy_triangular_syrk_herk_kernelILb0ELb0ELb0EfPKPfLi16ELi16EEviT3_ilPT2_i: ; @_ZL40rocblas_copy_triangular_syrk_herk_kernelILb0ELb0ELb0EfPKPfLi16ELi16EEviT3_ilPT2_i
; %bb.0:
	s_clause 0x1
	s_load_b32 s2, s[0:1], 0x3c
	s_load_b32 s3, s[0:1], 0x0
	v_bfe_u32 v2, v0, 10, 10
	v_and_b32_e32 v3, 0x3ff, v0
	s_waitcnt lgkmcnt(0)
	s_lshr_b32 s5, s2, 16
	s_and_b32 s2, s2, 0xffff
	s_delay_alu instid0(VALU_DEP_1) | instskip(SKIP_1) | instid1(VALU_DEP_1)
	v_mad_u64_u32 v[0:1], null, s14, s5, v[2:3]
	v_mad_u64_u32 v[1:2], null, s13, s2, v[3:4]
	v_max_i32_e32 v2, v0, v1
	v_cmp_lt_i32_e64 s2, v0, v1
	s_delay_alu instid0(VALU_DEP_2) | instskip(NEXT) | instid1(VALU_DEP_2)
	v_cmp_gt_i32_e32 vcc_lo, s3, v2
	s_and_b32 s2, s2, vcc_lo
	s_delay_alu instid0(SALU_CYCLE_1)
	s_and_saveexec_b32 s5, s2
	s_cbranch_execz .LBB19_2
; %bb.1:
	v_not_b32_e32 v2, v0
	s_load_b64 s[6:7], s[0:1], 0x20
	s_add_i32 s2, s3, -1
	s_mov_b32 s4, s15
	s_mul_hi_i32 s5, s2, s3
	v_lshl_add_u32 v3, s3, 1, v2
	s_mul_i32 s2, s2, s3
	s_lshr_b32 s3, s5, 31
	s_delay_alu instid0(SALU_CYCLE_1) | instskip(NEXT) | instid1(VALU_DEP_1)
	s_add_u32 s2, s2, s3
	v_mul_lo_u32 v3, v3, v0
	s_addc_u32 s3, s5, 0
	s_delay_alu instid0(SALU_CYCLE_1) | instskip(NEXT) | instid1(SALU_CYCLE_1)
	s_ashr_i64 s[2:3], s[2:3], 1
	s_mul_i32 s3, s3, s15
	s_mul_hi_u32 s5, s2, s15
	s_mul_i32 s2, s2, s15
	s_delay_alu instid0(VALU_DEP_1)
	v_lshrrev_b32_e32 v4, 31, v3
	s_add_i32 s3, s5, s3
	s_mov_b32 s5, 0
	s_lshl_b64 s[2:3], s[2:3], 2
	s_waitcnt lgkmcnt(0)
	s_add_u32 s2, s6, s2
	v_add_nc_u32_e32 v3, v3, v4
	s_addc_u32 s3, s7, s3
	s_delay_alu instid0(VALU_DEP_1) | instskip(NEXT) | instid1(VALU_DEP_1)
	v_ashrrev_i32_e32 v3, 1, v3
	v_add3_u32 v2, v1, v2, v3
	s_delay_alu instid0(VALU_DEP_1) | instskip(NEXT) | instid1(VALU_DEP_1)
	v_ashrrev_i32_e32 v3, 31, v2
	v_lshlrev_b64 v[2:3], 2, v[2:3]
	s_delay_alu instid0(VALU_DEP_1) | instskip(NEXT) | instid1(VALU_DEP_2)
	v_add_co_u32 v2, vcc_lo, s2, v2
	v_add_co_ci_u32_e32 v3, vcc_lo, s3, v3, vcc_lo
	global_load_b32 v4, v[2:3], off
	s_clause 0x1
	s_load_b64 s[2:3], s[0:1], 0x8
	s_load_b32 s6, s[0:1], 0x10
	s_lshl_b64 s[0:1], s[4:5], 3
	s_waitcnt lgkmcnt(0)
	s_add_u32 s0, s2, s0
	s_addc_u32 s1, s3, s1
	v_mad_i64_i32 v[2:3], null, v1, s6, 0
	s_load_b64 s[0:1], s[0:1], 0x0
	v_ashrrev_i32_e32 v1, 31, v0
	s_delay_alu instid0(VALU_DEP_1) | instskip(NEXT) | instid1(VALU_DEP_3)
	v_lshlrev_b64 v[0:1], 2, v[0:1]
	v_lshlrev_b64 v[2:3], 2, v[2:3]
	s_waitcnt lgkmcnt(0)
	s_delay_alu instid0(VALU_DEP_1) | instskip(NEXT) | instid1(VALU_DEP_2)
	v_add_co_u32 v2, vcc_lo, s0, v2
	v_add_co_ci_u32_e32 v3, vcc_lo, s1, v3, vcc_lo
	s_delay_alu instid0(VALU_DEP_2) | instskip(NEXT) | instid1(VALU_DEP_2)
	v_add_co_u32 v0, vcc_lo, v2, v0
	v_add_co_ci_u32_e32 v1, vcc_lo, v3, v1, vcc_lo
	s_waitcnt vmcnt(0)
	global_store_b32 v[0:1], v4, off
.LBB19_2:
	s_nop 0
	s_sendmsg sendmsg(MSG_DEALLOC_VGPRS)
	s_endpgm
	.section	.rodata,"a",@progbits
	.p2align	6, 0x0
	.amdhsa_kernel _ZL40rocblas_copy_triangular_syrk_herk_kernelILb0ELb0ELb0EfPKPfLi16ELi16EEviT3_ilPT2_i
		.amdhsa_group_segment_fixed_size 0
		.amdhsa_private_segment_fixed_size 0
		.amdhsa_kernarg_size 304
		.amdhsa_user_sgpr_count 13
		.amdhsa_user_sgpr_dispatch_ptr 0
		.amdhsa_user_sgpr_queue_ptr 0
		.amdhsa_user_sgpr_kernarg_segment_ptr 1
		.amdhsa_user_sgpr_dispatch_id 0
		.amdhsa_user_sgpr_private_segment_size 0
		.amdhsa_wavefront_size32 1
		.amdhsa_uses_dynamic_stack 0
		.amdhsa_enable_private_segment 0
		.amdhsa_system_sgpr_workgroup_id_x 1
		.amdhsa_system_sgpr_workgroup_id_y 1
		.amdhsa_system_sgpr_workgroup_id_z 1
		.amdhsa_system_sgpr_workgroup_info 0
		.amdhsa_system_vgpr_workitem_id 1
		.amdhsa_next_free_vgpr 5
		.amdhsa_next_free_sgpr 16
		.amdhsa_reserve_vcc 1
		.amdhsa_float_round_mode_32 0
		.amdhsa_float_round_mode_16_64 0
		.amdhsa_float_denorm_mode_32 3
		.amdhsa_float_denorm_mode_16_64 3
		.amdhsa_dx10_clamp 1
		.amdhsa_ieee_mode 1
		.amdhsa_fp16_overflow 0
		.amdhsa_workgroup_processor_mode 1
		.amdhsa_memory_ordered 1
		.amdhsa_forward_progress 0
		.amdhsa_shared_vgpr_count 0
		.amdhsa_exception_fp_ieee_invalid_op 0
		.amdhsa_exception_fp_denorm_src 0
		.amdhsa_exception_fp_ieee_div_zero 0
		.amdhsa_exception_fp_ieee_overflow 0
		.amdhsa_exception_fp_ieee_underflow 0
		.amdhsa_exception_fp_ieee_inexact 0
		.amdhsa_exception_int_div_zero 0
	.end_amdhsa_kernel
	.section	.text._ZL40rocblas_copy_triangular_syrk_herk_kernelILb0ELb0ELb0EfPKPfLi16ELi16EEviT3_ilPT2_i,"axG",@progbits,_ZL40rocblas_copy_triangular_syrk_herk_kernelILb0ELb0ELb0EfPKPfLi16ELi16EEviT3_ilPT2_i,comdat
.Lfunc_end19:
	.size	_ZL40rocblas_copy_triangular_syrk_herk_kernelILb0ELb0ELb0EfPKPfLi16ELi16EEviT3_ilPT2_i, .Lfunc_end19-_ZL40rocblas_copy_triangular_syrk_herk_kernelILb0ELb0ELb0EfPKPfLi16ELi16EEviT3_ilPT2_i
                                        ; -- End function
	.section	.AMDGPU.csdata,"",@progbits
; Kernel info:
; codeLenInByte = 416
; NumSgprs: 18
; NumVgprs: 5
; ScratchSize: 0
; MemoryBound: 0
; FloatMode: 240
; IeeeMode: 1
; LDSByteSize: 0 bytes/workgroup (compile time only)
; SGPRBlocks: 2
; VGPRBlocks: 0
; NumSGPRsForWavesPerEU: 18
; NumVGPRsForWavesPerEU: 5
; Occupancy: 16
; WaveLimiterHint : 1
; COMPUTE_PGM_RSRC2:SCRATCH_EN: 0
; COMPUTE_PGM_RSRC2:USER_SGPR: 13
; COMPUTE_PGM_RSRC2:TRAP_HANDLER: 0
; COMPUTE_PGM_RSRC2:TGID_X_EN: 1
; COMPUTE_PGM_RSRC2:TGID_Y_EN: 1
; COMPUTE_PGM_RSRC2:TGID_Z_EN: 1
; COMPUTE_PGM_RSRC2:TIDIG_COMP_CNT: 1
	.section	.text._ZL40rocblas_copy_triangular_syrk_herk_kernelILb1ELb1ELb0EdPKPdLi16ELi16EEviT3_ilPT2_i,"axG",@progbits,_ZL40rocblas_copy_triangular_syrk_herk_kernelILb1ELb1ELb0EdPKPdLi16ELi16EEviT3_ilPT2_i,comdat
	.globl	_ZL40rocblas_copy_triangular_syrk_herk_kernelILb1ELb1ELb0EdPKPdLi16ELi16EEviT3_ilPT2_i ; -- Begin function _ZL40rocblas_copy_triangular_syrk_herk_kernelILb1ELb1ELb0EdPKPdLi16ELi16EEviT3_ilPT2_i
	.p2align	8
	.type	_ZL40rocblas_copy_triangular_syrk_herk_kernelILb1ELb1ELb0EdPKPdLi16ELi16EEviT3_ilPT2_i,@function
_ZL40rocblas_copy_triangular_syrk_herk_kernelILb1ELb1ELb0EdPKPdLi16ELi16EEviT3_ilPT2_i: ; @_ZL40rocblas_copy_triangular_syrk_herk_kernelILb1ELb1ELb0EdPKPdLi16ELi16EEviT3_ilPT2_i
; %bb.0:
	s_clause 0x1
	s_load_b32 s2, s[0:1], 0x3c
	s_load_b32 s3, s[0:1], 0x0
	v_bfe_u32 v1, v0, 10, 10
	v_and_b32_e32 v4, 0x3ff, v0
	s_waitcnt lgkmcnt(0)
	s_lshr_b32 s5, s2, 16
	s_and_b32 s2, s2, 0xffff
	v_mad_u64_u32 v[2:3], null, s14, s5, v[1:2]
	v_mad_u64_u32 v[0:1], null, s13, s2, v[4:5]
	s_delay_alu instid0(VALU_DEP_1) | instskip(SKIP_1) | instid1(VALU_DEP_2)
	v_max_i32_e32 v1, v2, v0
	v_cmp_gt_i32_e64 s2, v2, v0
	v_cmp_gt_i32_e32 vcc_lo, s3, v1
	s_delay_alu instid0(VALU_DEP_2) | instskip(NEXT) | instid1(SALU_CYCLE_1)
	s_and_b32 s2, s2, vcc_lo
	s_and_saveexec_b32 s5, s2
	s_cbranch_execz .LBB20_2
; %bb.1:
	s_clause 0x1
	s_load_b64 s[6:7], s[0:1], 0x20
	s_load_b32 s10, s[0:1], 0x10
	s_add_i32 s2, s3, -1
	s_load_b64 s[8:9], s[0:1], 0x8
	s_mul_hi_i32 s5, s2, s3
	s_mul_i32 s2, s2, s3
	s_lshr_b32 s3, s5, 31
	s_mov_b32 s4, s15
	s_add_u32 s2, s2, s3
	s_addc_u32 s3, s5, 0
	s_mov_b32 s5, 0
	s_ashr_i64 s[2:3], s[2:3], 1
	v_ashrrev_i32_e32 v3, 31, v2
	s_mul_i32 s1, s3, s15
	s_mul_hi_u32 s3, s2, s15
	s_mul_i32 s0, s2, s15
	s_add_i32 s1, s3, s1
	v_lshlrev_b64 v[6:7], 3, v[2:3]
	s_lshl_b64 s[0:1], s[0:1], 3
	s_waitcnt lgkmcnt(0)
	s_add_u32 s2, s6, s0
	s_addc_u32 s3, s7, s1
	s_lshl_b64 s[0:1], s[4:5], 3
	v_mad_i64_i32 v[4:5], null, v0, s10, 0
	s_add_u32 s0, s8, s0
	s_addc_u32 s1, s9, s1
	s_load_b64 s[0:1], s[0:1], 0x0
	s_delay_alu instid0(VALU_DEP_1) | instskip(SKIP_1) | instid1(VALU_DEP_1)
	v_lshlrev_b64 v[4:5], 3, v[4:5]
	s_waitcnt lgkmcnt(0)
	v_add_co_u32 v1, vcc_lo, s0, v4
	s_delay_alu instid0(VALU_DEP_2) | instskip(NEXT) | instid1(VALU_DEP_2)
	v_add_co_ci_u32_e32 v4, vcc_lo, s1, v5, vcc_lo
	v_add_co_u32 v3, vcc_lo, v1, v6
	s_delay_alu instid0(VALU_DEP_2) | instskip(SKIP_3) | instid1(VALU_DEP_1)
	v_add_co_ci_u32_e32 v4, vcc_lo, v4, v7, vcc_lo
	v_add_nc_u32_e32 v1, -1, v2
	global_load_b64 v[3:4], v[3:4], off
	v_mul_lo_u32 v1, v1, v2
	v_lshrrev_b32_e32 v2, 31, v1
	s_delay_alu instid0(VALU_DEP_1) | instskip(NEXT) | instid1(VALU_DEP_1)
	v_add_nc_u32_e32 v1, v1, v2
	v_ashrrev_i32_e32 v1, 1, v1
	s_delay_alu instid0(VALU_DEP_1) | instskip(NEXT) | instid1(VALU_DEP_1)
	v_add_nc_u32_e32 v0, v1, v0
	v_ashrrev_i32_e32 v1, 31, v0
	s_delay_alu instid0(VALU_DEP_1) | instskip(NEXT) | instid1(VALU_DEP_1)
	v_lshlrev_b64 v[0:1], 3, v[0:1]
	v_add_co_u32 v0, vcc_lo, s2, v0
	s_delay_alu instid0(VALU_DEP_2)
	v_add_co_ci_u32_e32 v1, vcc_lo, s3, v1, vcc_lo
	s_waitcnt vmcnt(0)
	global_store_b64 v[0:1], v[3:4], off
.LBB20_2:
	s_nop 0
	s_sendmsg sendmsg(MSG_DEALLOC_VGPRS)
	s_endpgm
	.section	.rodata,"a",@progbits
	.p2align	6, 0x0
	.amdhsa_kernel _ZL40rocblas_copy_triangular_syrk_herk_kernelILb1ELb1ELb0EdPKPdLi16ELi16EEviT3_ilPT2_i
		.amdhsa_group_segment_fixed_size 0
		.amdhsa_private_segment_fixed_size 0
		.amdhsa_kernarg_size 304
		.amdhsa_user_sgpr_count 13
		.amdhsa_user_sgpr_dispatch_ptr 0
		.amdhsa_user_sgpr_queue_ptr 0
		.amdhsa_user_sgpr_kernarg_segment_ptr 1
		.amdhsa_user_sgpr_dispatch_id 0
		.amdhsa_user_sgpr_private_segment_size 0
		.amdhsa_wavefront_size32 1
		.amdhsa_uses_dynamic_stack 0
		.amdhsa_enable_private_segment 0
		.amdhsa_system_sgpr_workgroup_id_x 1
		.amdhsa_system_sgpr_workgroup_id_y 1
		.amdhsa_system_sgpr_workgroup_id_z 1
		.amdhsa_system_sgpr_workgroup_info 0
		.amdhsa_system_vgpr_workitem_id 1
		.amdhsa_next_free_vgpr 8
		.amdhsa_next_free_sgpr 16
		.amdhsa_reserve_vcc 1
		.amdhsa_float_round_mode_32 0
		.amdhsa_float_round_mode_16_64 0
		.amdhsa_float_denorm_mode_32 3
		.amdhsa_float_denorm_mode_16_64 3
		.amdhsa_dx10_clamp 1
		.amdhsa_ieee_mode 1
		.amdhsa_fp16_overflow 0
		.amdhsa_workgroup_processor_mode 1
		.amdhsa_memory_ordered 1
		.amdhsa_forward_progress 0
		.amdhsa_shared_vgpr_count 0
		.amdhsa_exception_fp_ieee_invalid_op 0
		.amdhsa_exception_fp_denorm_src 0
		.amdhsa_exception_fp_ieee_div_zero 0
		.amdhsa_exception_fp_ieee_overflow 0
		.amdhsa_exception_fp_ieee_underflow 0
		.amdhsa_exception_fp_ieee_inexact 0
		.amdhsa_exception_int_div_zero 0
	.end_amdhsa_kernel
	.section	.text._ZL40rocblas_copy_triangular_syrk_herk_kernelILb1ELb1ELb0EdPKPdLi16ELi16EEviT3_ilPT2_i,"axG",@progbits,_ZL40rocblas_copy_triangular_syrk_herk_kernelILb1ELb1ELb0EdPKPdLi16ELi16EEviT3_ilPT2_i,comdat
.Lfunc_end20:
	.size	_ZL40rocblas_copy_triangular_syrk_herk_kernelILb1ELb1ELb0EdPKPdLi16ELi16EEviT3_ilPT2_i, .Lfunc_end20-_ZL40rocblas_copy_triangular_syrk_herk_kernelILb1ELb1ELb0EdPKPdLi16ELi16EEviT3_ilPT2_i
                                        ; -- End function
	.section	.AMDGPU.csdata,"",@progbits
; Kernel info:
; codeLenInByte = 388
; NumSgprs: 18
; NumVgprs: 8
; ScratchSize: 0
; MemoryBound: 0
; FloatMode: 240
; IeeeMode: 1
; LDSByteSize: 0 bytes/workgroup (compile time only)
; SGPRBlocks: 2
; VGPRBlocks: 0
; NumSGPRsForWavesPerEU: 18
; NumVGPRsForWavesPerEU: 8
; Occupancy: 16
; WaveLimiterHint : 1
; COMPUTE_PGM_RSRC2:SCRATCH_EN: 0
; COMPUTE_PGM_RSRC2:USER_SGPR: 13
; COMPUTE_PGM_RSRC2:TRAP_HANDLER: 0
; COMPUTE_PGM_RSRC2:TGID_X_EN: 1
; COMPUTE_PGM_RSRC2:TGID_Y_EN: 1
; COMPUTE_PGM_RSRC2:TGID_Z_EN: 1
; COMPUTE_PGM_RSRC2:TIDIG_COMP_CNT: 1
	.section	.text._ZL40rocblas_copy_triangular_syrk_herk_kernelILb1ELb0ELb0EdPKPdLi16ELi16EEviT3_ilPT2_i,"axG",@progbits,_ZL40rocblas_copy_triangular_syrk_herk_kernelILb1ELb0ELb0EdPKPdLi16ELi16EEviT3_ilPT2_i,comdat
	.globl	_ZL40rocblas_copy_triangular_syrk_herk_kernelILb1ELb0ELb0EdPKPdLi16ELi16EEviT3_ilPT2_i ; -- Begin function _ZL40rocblas_copy_triangular_syrk_herk_kernelILb1ELb0ELb0EdPKPdLi16ELi16EEviT3_ilPT2_i
	.p2align	8
	.type	_ZL40rocblas_copy_triangular_syrk_herk_kernelILb1ELb0ELb0EdPKPdLi16ELi16EEviT3_ilPT2_i,@function
_ZL40rocblas_copy_triangular_syrk_herk_kernelILb1ELb0ELb0EdPKPdLi16ELi16EEviT3_ilPT2_i: ; @_ZL40rocblas_copy_triangular_syrk_herk_kernelILb1ELb0ELb0EdPKPdLi16ELi16EEviT3_ilPT2_i
; %bb.0:
	s_clause 0x1
	s_load_b32 s2, s[0:1], 0x3c
	s_load_b32 s3, s[0:1], 0x0
	v_bfe_u32 v1, v0, 10, 10
	v_and_b32_e32 v4, 0x3ff, v0
	s_waitcnt lgkmcnt(0)
	s_lshr_b32 s5, s2, 16
	s_and_b32 s2, s2, 0xffff
	v_mad_u64_u32 v[2:3], null, s14, s5, v[1:2]
	v_mad_u64_u32 v[0:1], null, s13, s2, v[4:5]
	s_delay_alu instid0(VALU_DEP_1) | instskip(SKIP_1) | instid1(VALU_DEP_2)
	v_max_i32_e32 v1, v2, v0
	v_cmp_lt_i32_e64 s2, v2, v0
	v_cmp_gt_i32_e32 vcc_lo, s3, v1
	s_delay_alu instid0(VALU_DEP_2) | instskip(NEXT) | instid1(SALU_CYCLE_1)
	s_and_b32 s2, s2, vcc_lo
	s_and_saveexec_b32 s5, s2
	s_cbranch_execz .LBB21_2
; %bb.1:
	s_load_b64 s[6:7], s[0:1], 0x20
	s_add_i32 s2, s3, -1
	s_load_b64 s[8:9], s[0:1], 0x8
	s_mul_hi_i32 s5, s2, s3
	s_mul_i32 s2, s2, s3
	s_lshr_b32 s10, s5, 31
	s_mov_b32 s4, s15
	s_add_u32 s10, s2, s10
	s_load_b32 s2, s[0:1], 0x10
	s_addc_u32 s11, s5, 0
	v_ashrrev_i32_e32 v3, 31, v2
	s_ashr_i64 s[10:11], s[10:11], 1
	s_delay_alu instid0(SALU_CYCLE_1)
	s_mul_i32 s1, s11, s15
	s_mul_hi_u32 s5, s10, s15
	s_mul_i32 s0, s10, s15
	s_add_i32 s1, s5, s1
	s_mov_b32 s5, 0
	s_lshl_b64 s[0:1], s[0:1], 3
	v_lshlrev_b64 v[6:7], 3, v[2:3]
	s_waitcnt lgkmcnt(0)
	s_add_u32 s6, s6, s0
	s_addc_u32 s7, s7, s1
	s_lshl_b64 s[0:1], s[4:5], 3
	s_delay_alu instid0(SALU_CYCLE_1) | instskip(SKIP_3) | instid1(VALU_DEP_1)
	s_add_u32 s0, s8, s0
	s_addc_u32 s1, s9, s1
	s_load_b64 s[0:1], s[0:1], 0x0
	v_mad_i64_i32 v[4:5], null, v0, s2, 0
	v_lshlrev_b64 v[4:5], 3, v[4:5]
	s_waitcnt lgkmcnt(0)
	s_delay_alu instid0(VALU_DEP_1) | instskip(NEXT) | instid1(VALU_DEP_2)
	v_add_co_u32 v1, vcc_lo, s0, v4
	v_add_co_ci_u32_e32 v4, vcc_lo, s1, v5, vcc_lo
	s_delay_alu instid0(VALU_DEP_2) | instskip(NEXT) | instid1(VALU_DEP_2)
	v_add_co_u32 v3, vcc_lo, v1, v6
	v_add_co_ci_u32_e32 v4, vcc_lo, v4, v7, vcc_lo
	v_not_b32_e32 v1, v2
	global_load_b64 v[3:4], v[3:4], off
	v_lshl_add_u32 v5, s3, 1, v1
	s_delay_alu instid0(VALU_DEP_1) | instskip(NEXT) | instid1(VALU_DEP_1)
	v_mul_lo_u32 v2, v5, v2
	v_lshrrev_b32_e32 v5, 31, v2
	s_delay_alu instid0(VALU_DEP_1) | instskip(NEXT) | instid1(VALU_DEP_1)
	v_add_nc_u32_e32 v2, v2, v5
	v_ashrrev_i32_e32 v2, 1, v2
	s_delay_alu instid0(VALU_DEP_1) | instskip(NEXT) | instid1(VALU_DEP_1)
	v_add3_u32 v0, v0, v1, v2
	v_ashrrev_i32_e32 v1, 31, v0
	s_delay_alu instid0(VALU_DEP_1) | instskip(NEXT) | instid1(VALU_DEP_1)
	v_lshlrev_b64 v[0:1], 3, v[0:1]
	v_add_co_u32 v0, vcc_lo, s6, v0
	s_delay_alu instid0(VALU_DEP_2)
	v_add_co_ci_u32_e32 v1, vcc_lo, s7, v1, vcc_lo
	s_waitcnt vmcnt(0)
	global_store_b64 v[0:1], v[3:4], off
.LBB21_2:
	s_nop 0
	s_sendmsg sendmsg(MSG_DEALLOC_VGPRS)
	s_endpgm
	.section	.rodata,"a",@progbits
	.p2align	6, 0x0
	.amdhsa_kernel _ZL40rocblas_copy_triangular_syrk_herk_kernelILb1ELb0ELb0EdPKPdLi16ELi16EEviT3_ilPT2_i
		.amdhsa_group_segment_fixed_size 0
		.amdhsa_private_segment_fixed_size 0
		.amdhsa_kernarg_size 304
		.amdhsa_user_sgpr_count 13
		.amdhsa_user_sgpr_dispatch_ptr 0
		.amdhsa_user_sgpr_queue_ptr 0
		.amdhsa_user_sgpr_kernarg_segment_ptr 1
		.amdhsa_user_sgpr_dispatch_id 0
		.amdhsa_user_sgpr_private_segment_size 0
		.amdhsa_wavefront_size32 1
		.amdhsa_uses_dynamic_stack 0
		.amdhsa_enable_private_segment 0
		.amdhsa_system_sgpr_workgroup_id_x 1
		.amdhsa_system_sgpr_workgroup_id_y 1
		.amdhsa_system_sgpr_workgroup_id_z 1
		.amdhsa_system_sgpr_workgroup_info 0
		.amdhsa_system_vgpr_workitem_id 1
		.amdhsa_next_free_vgpr 8
		.amdhsa_next_free_sgpr 16
		.amdhsa_reserve_vcc 1
		.amdhsa_float_round_mode_32 0
		.amdhsa_float_round_mode_16_64 0
		.amdhsa_float_denorm_mode_32 3
		.amdhsa_float_denorm_mode_16_64 3
		.amdhsa_dx10_clamp 1
		.amdhsa_ieee_mode 1
		.amdhsa_fp16_overflow 0
		.amdhsa_workgroup_processor_mode 1
		.amdhsa_memory_ordered 1
		.amdhsa_forward_progress 0
		.amdhsa_shared_vgpr_count 0
		.amdhsa_exception_fp_ieee_invalid_op 0
		.amdhsa_exception_fp_denorm_src 0
		.amdhsa_exception_fp_ieee_div_zero 0
		.amdhsa_exception_fp_ieee_overflow 0
		.amdhsa_exception_fp_ieee_underflow 0
		.amdhsa_exception_fp_ieee_inexact 0
		.amdhsa_exception_int_div_zero 0
	.end_amdhsa_kernel
	.section	.text._ZL40rocblas_copy_triangular_syrk_herk_kernelILb1ELb0ELb0EdPKPdLi16ELi16EEviT3_ilPT2_i,"axG",@progbits,_ZL40rocblas_copy_triangular_syrk_herk_kernelILb1ELb0ELb0EdPKPdLi16ELi16EEviT3_ilPT2_i,comdat
.Lfunc_end21:
	.size	_ZL40rocblas_copy_triangular_syrk_herk_kernelILb1ELb0ELb0EdPKPdLi16ELi16EEviT3_ilPT2_i, .Lfunc_end21-_ZL40rocblas_copy_triangular_syrk_herk_kernelILb1ELb0ELb0EdPKPdLi16ELi16EEviT3_ilPT2_i
                                        ; -- End function
	.section	.AMDGPU.csdata,"",@progbits
; Kernel info:
; codeLenInByte = 404
; NumSgprs: 18
; NumVgprs: 8
; ScratchSize: 0
; MemoryBound: 0
; FloatMode: 240
; IeeeMode: 1
; LDSByteSize: 0 bytes/workgroup (compile time only)
; SGPRBlocks: 2
; VGPRBlocks: 0
; NumSGPRsForWavesPerEU: 18
; NumVGPRsForWavesPerEU: 8
; Occupancy: 16
; WaveLimiterHint : 1
; COMPUTE_PGM_RSRC2:SCRATCH_EN: 0
; COMPUTE_PGM_RSRC2:USER_SGPR: 13
; COMPUTE_PGM_RSRC2:TRAP_HANDLER: 0
; COMPUTE_PGM_RSRC2:TGID_X_EN: 1
; COMPUTE_PGM_RSRC2:TGID_Y_EN: 1
; COMPUTE_PGM_RSRC2:TGID_Z_EN: 1
; COMPUTE_PGM_RSRC2:TIDIG_COMP_CNT: 1
	.section	.text._ZL40rocblas_copy_triangular_syrk_herk_kernelILb0ELb1ELb0EdPKPdLi16ELi16EEviT3_ilPT2_i,"axG",@progbits,_ZL40rocblas_copy_triangular_syrk_herk_kernelILb0ELb1ELb0EdPKPdLi16ELi16EEviT3_ilPT2_i,comdat
	.globl	_ZL40rocblas_copy_triangular_syrk_herk_kernelILb0ELb1ELb0EdPKPdLi16ELi16EEviT3_ilPT2_i ; -- Begin function _ZL40rocblas_copy_triangular_syrk_herk_kernelILb0ELb1ELb0EdPKPdLi16ELi16EEviT3_ilPT2_i
	.p2align	8
	.type	_ZL40rocblas_copy_triangular_syrk_herk_kernelILb0ELb1ELb0EdPKPdLi16ELi16EEviT3_ilPT2_i,@function
_ZL40rocblas_copy_triangular_syrk_herk_kernelILb0ELb1ELb0EdPKPdLi16ELi16EEviT3_ilPT2_i: ; @_ZL40rocblas_copy_triangular_syrk_herk_kernelILb0ELb1ELb0EdPKPdLi16ELi16EEviT3_ilPT2_i
; %bb.0:
	s_clause 0x1
	s_load_b32 s2, s[0:1], 0x3c
	s_load_b32 s3, s[0:1], 0x0
	v_bfe_u32 v2, v0, 10, 10
	v_and_b32_e32 v3, 0x3ff, v0
	s_waitcnt lgkmcnt(0)
	s_lshr_b32 s5, s2, 16
	s_and_b32 s2, s2, 0xffff
	s_delay_alu instid0(VALU_DEP_1) | instskip(SKIP_1) | instid1(VALU_DEP_1)
	v_mad_u64_u32 v[0:1], null, s14, s5, v[2:3]
	v_mad_u64_u32 v[1:2], null, s13, s2, v[3:4]
	v_max_i32_e32 v2, v0, v1
	v_cmp_gt_i32_e64 s2, v0, v1
	s_delay_alu instid0(VALU_DEP_2) | instskip(NEXT) | instid1(VALU_DEP_2)
	v_cmp_gt_i32_e32 vcc_lo, s3, v2
	s_and_b32 s2, s2, vcc_lo
	s_delay_alu instid0(SALU_CYCLE_1)
	s_and_saveexec_b32 s5, s2
	s_cbranch_execz .LBB22_2
; %bb.1:
	v_add_nc_u32_e32 v2, -1, v0
	s_load_b64 s[6:7], s[0:1], 0x20
	s_add_i32 s2, s3, -1
	s_mov_b32 s4, s15
	s_mul_hi_i32 s5, s2, s3
	v_mul_lo_u32 v2, v2, v0
	s_mul_i32 s2, s2, s3
	s_lshr_b32 s3, s5, 31
	s_delay_alu instid0(SALU_CYCLE_1) | instskip(SKIP_1) | instid1(SALU_CYCLE_1)
	s_add_u32 s2, s2, s3
	s_addc_u32 s3, s5, 0
	s_ashr_i64 s[2:3], s[2:3], 1
	s_delay_alu instid0(VALU_DEP_1)
	v_lshrrev_b32_e32 v3, 31, v2
	s_mul_i32 s3, s3, s15
	s_mul_hi_u32 s5, s2, s15
	s_mul_i32 s2, s2, s15
	s_add_i32 s3, s5, s3
	v_add_nc_u32_e32 v2, v2, v3
	s_lshl_b64 s[2:3], s[2:3], 3
	s_mov_b32 s5, 0
	s_waitcnt lgkmcnt(0)
	s_add_u32 s2, s6, s2
	s_addc_u32 s3, s7, s3
	v_ashrrev_i32_e32 v2, 1, v2
	s_delay_alu instid0(VALU_DEP_1) | instskip(NEXT) | instid1(VALU_DEP_1)
	v_add_nc_u32_e32 v2, v2, v1
	v_ashrrev_i32_e32 v3, 31, v2
	s_delay_alu instid0(VALU_DEP_1) | instskip(NEXT) | instid1(VALU_DEP_1)
	v_lshlrev_b64 v[2:3], 3, v[2:3]
	v_add_co_u32 v2, vcc_lo, s2, v2
	s_delay_alu instid0(VALU_DEP_2)
	v_add_co_ci_u32_e32 v3, vcc_lo, s3, v3, vcc_lo
	global_load_b64 v[2:3], v[2:3], off
	s_clause 0x1
	s_load_b64 s[2:3], s[0:1], 0x8
	s_load_b32 s6, s[0:1], 0x10
	s_lshl_b64 s[0:1], s[4:5], 3
	s_waitcnt lgkmcnt(0)
	s_add_u32 s0, s2, s0
	s_addc_u32 s1, s3, s1
	v_mad_i64_i32 v[4:5], null, v1, s6, 0
	s_load_b64 s[0:1], s[0:1], 0x0
	v_ashrrev_i32_e32 v1, 31, v0
	s_delay_alu instid0(VALU_DEP_1) | instskip(NEXT) | instid1(VALU_DEP_3)
	v_lshlrev_b64 v[0:1], 3, v[0:1]
	v_lshlrev_b64 v[4:5], 3, v[4:5]
	s_waitcnt lgkmcnt(0)
	s_delay_alu instid0(VALU_DEP_1) | instskip(NEXT) | instid1(VALU_DEP_2)
	v_add_co_u32 v4, vcc_lo, s0, v4
	v_add_co_ci_u32_e32 v5, vcc_lo, s1, v5, vcc_lo
	s_delay_alu instid0(VALU_DEP_2) | instskip(NEXT) | instid1(VALU_DEP_2)
	v_add_co_u32 v0, vcc_lo, v4, v0
	v_add_co_ci_u32_e32 v1, vcc_lo, v5, v1, vcc_lo
	s_waitcnt vmcnt(0)
	global_store_b64 v[0:1], v[2:3], off
.LBB22_2:
	s_nop 0
	s_sendmsg sendmsg(MSG_DEALLOC_VGPRS)
	s_endpgm
	.section	.rodata,"a",@progbits
	.p2align	6, 0x0
	.amdhsa_kernel _ZL40rocblas_copy_triangular_syrk_herk_kernelILb0ELb1ELb0EdPKPdLi16ELi16EEviT3_ilPT2_i
		.amdhsa_group_segment_fixed_size 0
		.amdhsa_private_segment_fixed_size 0
		.amdhsa_kernarg_size 304
		.amdhsa_user_sgpr_count 13
		.amdhsa_user_sgpr_dispatch_ptr 0
		.amdhsa_user_sgpr_queue_ptr 0
		.amdhsa_user_sgpr_kernarg_segment_ptr 1
		.amdhsa_user_sgpr_dispatch_id 0
		.amdhsa_user_sgpr_private_segment_size 0
		.amdhsa_wavefront_size32 1
		.amdhsa_uses_dynamic_stack 0
		.amdhsa_enable_private_segment 0
		.amdhsa_system_sgpr_workgroup_id_x 1
		.amdhsa_system_sgpr_workgroup_id_y 1
		.amdhsa_system_sgpr_workgroup_id_z 1
		.amdhsa_system_sgpr_workgroup_info 0
		.amdhsa_system_vgpr_workitem_id 1
		.amdhsa_next_free_vgpr 6
		.amdhsa_next_free_sgpr 16
		.amdhsa_reserve_vcc 1
		.amdhsa_float_round_mode_32 0
		.amdhsa_float_round_mode_16_64 0
		.amdhsa_float_denorm_mode_32 3
		.amdhsa_float_denorm_mode_16_64 3
		.amdhsa_dx10_clamp 1
		.amdhsa_ieee_mode 1
		.amdhsa_fp16_overflow 0
		.amdhsa_workgroup_processor_mode 1
		.amdhsa_memory_ordered 1
		.amdhsa_forward_progress 0
		.amdhsa_shared_vgpr_count 0
		.amdhsa_exception_fp_ieee_invalid_op 0
		.amdhsa_exception_fp_denorm_src 0
		.amdhsa_exception_fp_ieee_div_zero 0
		.amdhsa_exception_fp_ieee_overflow 0
		.amdhsa_exception_fp_ieee_underflow 0
		.amdhsa_exception_fp_ieee_inexact 0
		.amdhsa_exception_int_div_zero 0
	.end_amdhsa_kernel
	.section	.text._ZL40rocblas_copy_triangular_syrk_herk_kernelILb0ELb1ELb0EdPKPdLi16ELi16EEviT3_ilPT2_i,"axG",@progbits,_ZL40rocblas_copy_triangular_syrk_herk_kernelILb0ELb1ELb0EdPKPdLi16ELi16EEviT3_ilPT2_i,comdat
.Lfunc_end22:
	.size	_ZL40rocblas_copy_triangular_syrk_herk_kernelILb0ELb1ELb0EdPKPdLi16ELi16EEviT3_ilPT2_i, .Lfunc_end22-_ZL40rocblas_copy_triangular_syrk_herk_kernelILb0ELb1ELb0EdPKPdLi16ELi16EEviT3_ilPT2_i
                                        ; -- End function
	.section	.AMDGPU.csdata,"",@progbits
; Kernel info:
; codeLenInByte = 400
; NumSgprs: 18
; NumVgprs: 6
; ScratchSize: 0
; MemoryBound: 0
; FloatMode: 240
; IeeeMode: 1
; LDSByteSize: 0 bytes/workgroup (compile time only)
; SGPRBlocks: 2
; VGPRBlocks: 0
; NumSGPRsForWavesPerEU: 18
; NumVGPRsForWavesPerEU: 6
; Occupancy: 16
; WaveLimiterHint : 1
; COMPUTE_PGM_RSRC2:SCRATCH_EN: 0
; COMPUTE_PGM_RSRC2:USER_SGPR: 13
; COMPUTE_PGM_RSRC2:TRAP_HANDLER: 0
; COMPUTE_PGM_RSRC2:TGID_X_EN: 1
; COMPUTE_PGM_RSRC2:TGID_Y_EN: 1
; COMPUTE_PGM_RSRC2:TGID_Z_EN: 1
; COMPUTE_PGM_RSRC2:TIDIG_COMP_CNT: 1
	.section	.text._ZL40rocblas_copy_triangular_syrk_herk_kernelILb0ELb0ELb0EdPKPdLi16ELi16EEviT3_ilPT2_i,"axG",@progbits,_ZL40rocblas_copy_triangular_syrk_herk_kernelILb0ELb0ELb0EdPKPdLi16ELi16EEviT3_ilPT2_i,comdat
	.globl	_ZL40rocblas_copy_triangular_syrk_herk_kernelILb0ELb0ELb0EdPKPdLi16ELi16EEviT3_ilPT2_i ; -- Begin function _ZL40rocblas_copy_triangular_syrk_herk_kernelILb0ELb0ELb0EdPKPdLi16ELi16EEviT3_ilPT2_i
	.p2align	8
	.type	_ZL40rocblas_copy_triangular_syrk_herk_kernelILb0ELb0ELb0EdPKPdLi16ELi16EEviT3_ilPT2_i,@function
_ZL40rocblas_copy_triangular_syrk_herk_kernelILb0ELb0ELb0EdPKPdLi16ELi16EEviT3_ilPT2_i: ; @_ZL40rocblas_copy_triangular_syrk_herk_kernelILb0ELb0ELb0EdPKPdLi16ELi16EEviT3_ilPT2_i
; %bb.0:
	s_clause 0x1
	s_load_b32 s2, s[0:1], 0x3c
	s_load_b32 s3, s[0:1], 0x0
	v_bfe_u32 v2, v0, 10, 10
	v_and_b32_e32 v3, 0x3ff, v0
	s_waitcnt lgkmcnt(0)
	s_lshr_b32 s5, s2, 16
	s_and_b32 s2, s2, 0xffff
	s_delay_alu instid0(VALU_DEP_1) | instskip(SKIP_1) | instid1(VALU_DEP_1)
	v_mad_u64_u32 v[0:1], null, s14, s5, v[2:3]
	v_mad_u64_u32 v[1:2], null, s13, s2, v[3:4]
	v_max_i32_e32 v2, v0, v1
	v_cmp_lt_i32_e64 s2, v0, v1
	s_delay_alu instid0(VALU_DEP_2) | instskip(NEXT) | instid1(VALU_DEP_2)
	v_cmp_gt_i32_e32 vcc_lo, s3, v2
	s_and_b32 s2, s2, vcc_lo
	s_delay_alu instid0(SALU_CYCLE_1)
	s_and_saveexec_b32 s5, s2
	s_cbranch_execz .LBB23_2
; %bb.1:
	v_not_b32_e32 v2, v0
	s_load_b64 s[6:7], s[0:1], 0x20
	s_add_i32 s2, s3, -1
	s_mov_b32 s4, s15
	s_mul_hi_i32 s5, s2, s3
	v_lshl_add_u32 v3, s3, 1, v2
	s_mul_i32 s2, s2, s3
	s_lshr_b32 s3, s5, 31
	s_delay_alu instid0(SALU_CYCLE_1) | instskip(NEXT) | instid1(VALU_DEP_1)
	s_add_u32 s2, s2, s3
	v_mul_lo_u32 v3, v3, v0
	s_addc_u32 s3, s5, 0
	s_delay_alu instid0(SALU_CYCLE_1) | instskip(NEXT) | instid1(SALU_CYCLE_1)
	s_ashr_i64 s[2:3], s[2:3], 1
	s_mul_i32 s3, s3, s15
	s_mul_hi_u32 s5, s2, s15
	s_mul_i32 s2, s2, s15
	s_delay_alu instid0(VALU_DEP_1)
	v_lshrrev_b32_e32 v4, 31, v3
	s_add_i32 s3, s5, s3
	s_mov_b32 s5, 0
	s_lshl_b64 s[2:3], s[2:3], 3
	s_waitcnt lgkmcnt(0)
	s_add_u32 s2, s6, s2
	v_add_nc_u32_e32 v3, v3, v4
	s_addc_u32 s3, s7, s3
	s_delay_alu instid0(VALU_DEP_1) | instskip(NEXT) | instid1(VALU_DEP_1)
	v_ashrrev_i32_e32 v3, 1, v3
	v_add3_u32 v2, v1, v2, v3
	s_delay_alu instid0(VALU_DEP_1) | instskip(NEXT) | instid1(VALU_DEP_1)
	v_ashrrev_i32_e32 v3, 31, v2
	v_lshlrev_b64 v[2:3], 3, v[2:3]
	s_delay_alu instid0(VALU_DEP_1) | instskip(NEXT) | instid1(VALU_DEP_2)
	v_add_co_u32 v2, vcc_lo, s2, v2
	v_add_co_ci_u32_e32 v3, vcc_lo, s3, v3, vcc_lo
	global_load_b64 v[2:3], v[2:3], off
	s_clause 0x1
	s_load_b64 s[2:3], s[0:1], 0x8
	s_load_b32 s6, s[0:1], 0x10
	s_lshl_b64 s[0:1], s[4:5], 3
	s_waitcnt lgkmcnt(0)
	s_add_u32 s0, s2, s0
	s_addc_u32 s1, s3, s1
	v_mad_i64_i32 v[4:5], null, v1, s6, 0
	s_load_b64 s[0:1], s[0:1], 0x0
	v_ashrrev_i32_e32 v1, 31, v0
	s_delay_alu instid0(VALU_DEP_1) | instskip(NEXT) | instid1(VALU_DEP_3)
	v_lshlrev_b64 v[0:1], 3, v[0:1]
	v_lshlrev_b64 v[4:5], 3, v[4:5]
	s_waitcnt lgkmcnt(0)
	s_delay_alu instid0(VALU_DEP_1) | instskip(NEXT) | instid1(VALU_DEP_2)
	v_add_co_u32 v4, vcc_lo, s0, v4
	v_add_co_ci_u32_e32 v5, vcc_lo, s1, v5, vcc_lo
	s_delay_alu instid0(VALU_DEP_2) | instskip(NEXT) | instid1(VALU_DEP_2)
	v_add_co_u32 v0, vcc_lo, v4, v0
	v_add_co_ci_u32_e32 v1, vcc_lo, v5, v1, vcc_lo
	s_waitcnt vmcnt(0)
	global_store_b64 v[0:1], v[2:3], off
.LBB23_2:
	s_nop 0
	s_sendmsg sendmsg(MSG_DEALLOC_VGPRS)
	s_endpgm
	.section	.rodata,"a",@progbits
	.p2align	6, 0x0
	.amdhsa_kernel _ZL40rocblas_copy_triangular_syrk_herk_kernelILb0ELb0ELb0EdPKPdLi16ELi16EEviT3_ilPT2_i
		.amdhsa_group_segment_fixed_size 0
		.amdhsa_private_segment_fixed_size 0
		.amdhsa_kernarg_size 304
		.amdhsa_user_sgpr_count 13
		.amdhsa_user_sgpr_dispatch_ptr 0
		.amdhsa_user_sgpr_queue_ptr 0
		.amdhsa_user_sgpr_kernarg_segment_ptr 1
		.amdhsa_user_sgpr_dispatch_id 0
		.amdhsa_user_sgpr_private_segment_size 0
		.amdhsa_wavefront_size32 1
		.amdhsa_uses_dynamic_stack 0
		.amdhsa_enable_private_segment 0
		.amdhsa_system_sgpr_workgroup_id_x 1
		.amdhsa_system_sgpr_workgroup_id_y 1
		.amdhsa_system_sgpr_workgroup_id_z 1
		.amdhsa_system_sgpr_workgroup_info 0
		.amdhsa_system_vgpr_workitem_id 1
		.amdhsa_next_free_vgpr 6
		.amdhsa_next_free_sgpr 16
		.amdhsa_reserve_vcc 1
		.amdhsa_float_round_mode_32 0
		.amdhsa_float_round_mode_16_64 0
		.amdhsa_float_denorm_mode_32 3
		.amdhsa_float_denorm_mode_16_64 3
		.amdhsa_dx10_clamp 1
		.amdhsa_ieee_mode 1
		.amdhsa_fp16_overflow 0
		.amdhsa_workgroup_processor_mode 1
		.amdhsa_memory_ordered 1
		.amdhsa_forward_progress 0
		.amdhsa_shared_vgpr_count 0
		.amdhsa_exception_fp_ieee_invalid_op 0
		.amdhsa_exception_fp_denorm_src 0
		.amdhsa_exception_fp_ieee_div_zero 0
		.amdhsa_exception_fp_ieee_overflow 0
		.amdhsa_exception_fp_ieee_underflow 0
		.amdhsa_exception_fp_ieee_inexact 0
		.amdhsa_exception_int_div_zero 0
	.end_amdhsa_kernel
	.section	.text._ZL40rocblas_copy_triangular_syrk_herk_kernelILb0ELb0ELb0EdPKPdLi16ELi16EEviT3_ilPT2_i,"axG",@progbits,_ZL40rocblas_copy_triangular_syrk_herk_kernelILb0ELb0ELb0EdPKPdLi16ELi16EEviT3_ilPT2_i,comdat
.Lfunc_end23:
	.size	_ZL40rocblas_copy_triangular_syrk_herk_kernelILb0ELb0ELb0EdPKPdLi16ELi16EEviT3_ilPT2_i, .Lfunc_end23-_ZL40rocblas_copy_triangular_syrk_herk_kernelILb0ELb0ELb0EdPKPdLi16ELi16EEviT3_ilPT2_i
                                        ; -- End function
	.section	.AMDGPU.csdata,"",@progbits
; Kernel info:
; codeLenInByte = 416
; NumSgprs: 18
; NumVgprs: 6
; ScratchSize: 0
; MemoryBound: 0
; FloatMode: 240
; IeeeMode: 1
; LDSByteSize: 0 bytes/workgroup (compile time only)
; SGPRBlocks: 2
; VGPRBlocks: 0
; NumSGPRsForWavesPerEU: 18
; NumVGPRsForWavesPerEU: 6
; Occupancy: 16
; WaveLimiterHint : 1
; COMPUTE_PGM_RSRC2:SCRATCH_EN: 0
; COMPUTE_PGM_RSRC2:USER_SGPR: 13
; COMPUTE_PGM_RSRC2:TRAP_HANDLER: 0
; COMPUTE_PGM_RSRC2:TGID_X_EN: 1
; COMPUTE_PGM_RSRC2:TGID_Y_EN: 1
; COMPUTE_PGM_RSRC2:TGID_Z_EN: 1
; COMPUTE_PGM_RSRC2:TIDIG_COMP_CNT: 1
	.section	.text._ZL40rocblas_copy_triangular_syrk_herk_kernelILb1ELb1ELb0E19rocblas_complex_numIfEPKPS1_Li16ELi16EEviT3_ilPT2_i,"axG",@progbits,_ZL40rocblas_copy_triangular_syrk_herk_kernelILb1ELb1ELb0E19rocblas_complex_numIfEPKPS1_Li16ELi16EEviT3_ilPT2_i,comdat
	.globl	_ZL40rocblas_copy_triangular_syrk_herk_kernelILb1ELb1ELb0E19rocblas_complex_numIfEPKPS1_Li16ELi16EEviT3_ilPT2_i ; -- Begin function _ZL40rocblas_copy_triangular_syrk_herk_kernelILb1ELb1ELb0E19rocblas_complex_numIfEPKPS1_Li16ELi16EEviT3_ilPT2_i
	.p2align	8
	.type	_ZL40rocblas_copy_triangular_syrk_herk_kernelILb1ELb1ELb0E19rocblas_complex_numIfEPKPS1_Li16ELi16EEviT3_ilPT2_i,@function
_ZL40rocblas_copy_triangular_syrk_herk_kernelILb1ELb1ELb0E19rocblas_complex_numIfEPKPS1_Li16ELi16EEviT3_ilPT2_i: ; @_ZL40rocblas_copy_triangular_syrk_herk_kernelILb1ELb1ELb0E19rocblas_complex_numIfEPKPS1_Li16ELi16EEviT3_ilPT2_i
; %bb.0:
	s_clause 0x1
	s_load_b32 s2, s[0:1], 0x3c
	s_load_b32 s3, s[0:1], 0x0
	v_bfe_u32 v1, v0, 10, 10
	v_and_b32_e32 v4, 0x3ff, v0
	s_waitcnt lgkmcnt(0)
	s_lshr_b32 s5, s2, 16
	s_and_b32 s2, s2, 0xffff
	v_mad_u64_u32 v[2:3], null, s14, s5, v[1:2]
	v_mad_u64_u32 v[0:1], null, s13, s2, v[4:5]
	s_delay_alu instid0(VALU_DEP_1) | instskip(SKIP_1) | instid1(VALU_DEP_2)
	v_max_i32_e32 v1, v2, v0
	v_cmp_gt_i32_e64 s2, v2, v0
	v_cmp_gt_i32_e32 vcc_lo, s3, v1
	s_delay_alu instid0(VALU_DEP_2) | instskip(NEXT) | instid1(SALU_CYCLE_1)
	s_and_b32 s2, s2, vcc_lo
	s_and_saveexec_b32 s5, s2
	s_cbranch_execz .LBB24_2
; %bb.1:
	s_clause 0x1
	s_load_b64 s[6:7], s[0:1], 0x20
	s_load_b32 s10, s[0:1], 0x10
	s_add_i32 s2, s3, -1
	s_load_b64 s[8:9], s[0:1], 0x8
	s_mul_hi_i32 s5, s2, s3
	s_mul_i32 s2, s2, s3
	s_lshr_b32 s3, s5, 31
	s_mov_b32 s4, s15
	s_add_u32 s2, s2, s3
	s_addc_u32 s3, s5, 0
	s_mov_b32 s5, 0
	s_ashr_i64 s[2:3], s[2:3], 1
	v_ashrrev_i32_e32 v3, 31, v2
	s_mul_i32 s1, s3, s15
	s_mul_hi_u32 s3, s2, s15
	s_mul_i32 s0, s2, s15
	s_add_i32 s1, s3, s1
	v_lshlrev_b64 v[6:7], 3, v[2:3]
	s_lshl_b64 s[0:1], s[0:1], 3
	s_waitcnt lgkmcnt(0)
	s_add_u32 s2, s6, s0
	s_addc_u32 s3, s7, s1
	s_lshl_b64 s[0:1], s[4:5], 3
	v_mad_i64_i32 v[4:5], null, v0, s10, 0
	s_add_u32 s0, s8, s0
	s_addc_u32 s1, s9, s1
	s_load_b64 s[0:1], s[0:1], 0x0
	s_delay_alu instid0(VALU_DEP_1) | instskip(SKIP_1) | instid1(VALU_DEP_1)
	v_lshlrev_b64 v[4:5], 3, v[4:5]
	s_waitcnt lgkmcnt(0)
	v_add_co_u32 v1, vcc_lo, s0, v4
	s_delay_alu instid0(VALU_DEP_2) | instskip(NEXT) | instid1(VALU_DEP_2)
	v_add_co_ci_u32_e32 v4, vcc_lo, s1, v5, vcc_lo
	v_add_co_u32 v3, vcc_lo, v1, v6
	s_delay_alu instid0(VALU_DEP_2) | instskip(SKIP_3) | instid1(VALU_DEP_1)
	v_add_co_ci_u32_e32 v4, vcc_lo, v4, v7, vcc_lo
	v_add_nc_u32_e32 v1, -1, v2
	global_load_b64 v[3:4], v[3:4], off
	v_mul_lo_u32 v1, v1, v2
	v_lshrrev_b32_e32 v2, 31, v1
	s_delay_alu instid0(VALU_DEP_1) | instskip(NEXT) | instid1(VALU_DEP_1)
	v_add_nc_u32_e32 v1, v1, v2
	v_ashrrev_i32_e32 v1, 1, v1
	s_delay_alu instid0(VALU_DEP_1) | instskip(NEXT) | instid1(VALU_DEP_1)
	v_add_nc_u32_e32 v0, v1, v0
	v_ashrrev_i32_e32 v1, 31, v0
	s_delay_alu instid0(VALU_DEP_1) | instskip(NEXT) | instid1(VALU_DEP_1)
	v_lshlrev_b64 v[0:1], 3, v[0:1]
	v_add_co_u32 v0, vcc_lo, s2, v0
	s_delay_alu instid0(VALU_DEP_2)
	v_add_co_ci_u32_e32 v1, vcc_lo, s3, v1, vcc_lo
	s_waitcnt vmcnt(0)
	global_store_b64 v[0:1], v[3:4], off
.LBB24_2:
	s_nop 0
	s_sendmsg sendmsg(MSG_DEALLOC_VGPRS)
	s_endpgm
	.section	.rodata,"a",@progbits
	.p2align	6, 0x0
	.amdhsa_kernel _ZL40rocblas_copy_triangular_syrk_herk_kernelILb1ELb1ELb0E19rocblas_complex_numIfEPKPS1_Li16ELi16EEviT3_ilPT2_i
		.amdhsa_group_segment_fixed_size 0
		.amdhsa_private_segment_fixed_size 0
		.amdhsa_kernarg_size 304
		.amdhsa_user_sgpr_count 13
		.amdhsa_user_sgpr_dispatch_ptr 0
		.amdhsa_user_sgpr_queue_ptr 0
		.amdhsa_user_sgpr_kernarg_segment_ptr 1
		.amdhsa_user_sgpr_dispatch_id 0
		.amdhsa_user_sgpr_private_segment_size 0
		.amdhsa_wavefront_size32 1
		.amdhsa_uses_dynamic_stack 0
		.amdhsa_enable_private_segment 0
		.amdhsa_system_sgpr_workgroup_id_x 1
		.amdhsa_system_sgpr_workgroup_id_y 1
		.amdhsa_system_sgpr_workgroup_id_z 1
		.amdhsa_system_sgpr_workgroup_info 0
		.amdhsa_system_vgpr_workitem_id 1
		.amdhsa_next_free_vgpr 8
		.amdhsa_next_free_sgpr 16
		.amdhsa_reserve_vcc 1
		.amdhsa_float_round_mode_32 0
		.amdhsa_float_round_mode_16_64 0
		.amdhsa_float_denorm_mode_32 3
		.amdhsa_float_denorm_mode_16_64 3
		.amdhsa_dx10_clamp 1
		.amdhsa_ieee_mode 1
		.amdhsa_fp16_overflow 0
		.amdhsa_workgroup_processor_mode 1
		.amdhsa_memory_ordered 1
		.amdhsa_forward_progress 0
		.amdhsa_shared_vgpr_count 0
		.amdhsa_exception_fp_ieee_invalid_op 0
		.amdhsa_exception_fp_denorm_src 0
		.amdhsa_exception_fp_ieee_div_zero 0
		.amdhsa_exception_fp_ieee_overflow 0
		.amdhsa_exception_fp_ieee_underflow 0
		.amdhsa_exception_fp_ieee_inexact 0
		.amdhsa_exception_int_div_zero 0
	.end_amdhsa_kernel
	.section	.text._ZL40rocblas_copy_triangular_syrk_herk_kernelILb1ELb1ELb0E19rocblas_complex_numIfEPKPS1_Li16ELi16EEviT3_ilPT2_i,"axG",@progbits,_ZL40rocblas_copy_triangular_syrk_herk_kernelILb1ELb1ELb0E19rocblas_complex_numIfEPKPS1_Li16ELi16EEviT3_ilPT2_i,comdat
.Lfunc_end24:
	.size	_ZL40rocblas_copy_triangular_syrk_herk_kernelILb1ELb1ELb0E19rocblas_complex_numIfEPKPS1_Li16ELi16EEviT3_ilPT2_i, .Lfunc_end24-_ZL40rocblas_copy_triangular_syrk_herk_kernelILb1ELb1ELb0E19rocblas_complex_numIfEPKPS1_Li16ELi16EEviT3_ilPT2_i
                                        ; -- End function
	.section	.AMDGPU.csdata,"",@progbits
; Kernel info:
; codeLenInByte = 388
; NumSgprs: 18
; NumVgprs: 8
; ScratchSize: 0
; MemoryBound: 0
; FloatMode: 240
; IeeeMode: 1
; LDSByteSize: 0 bytes/workgroup (compile time only)
; SGPRBlocks: 2
; VGPRBlocks: 0
; NumSGPRsForWavesPerEU: 18
; NumVGPRsForWavesPerEU: 8
; Occupancy: 16
; WaveLimiterHint : 1
; COMPUTE_PGM_RSRC2:SCRATCH_EN: 0
; COMPUTE_PGM_RSRC2:USER_SGPR: 13
; COMPUTE_PGM_RSRC2:TRAP_HANDLER: 0
; COMPUTE_PGM_RSRC2:TGID_X_EN: 1
; COMPUTE_PGM_RSRC2:TGID_Y_EN: 1
; COMPUTE_PGM_RSRC2:TGID_Z_EN: 1
; COMPUTE_PGM_RSRC2:TIDIG_COMP_CNT: 1
	.section	.text._ZL40rocblas_copy_triangular_syrk_herk_kernelILb1ELb0ELb0E19rocblas_complex_numIfEPKPS1_Li16ELi16EEviT3_ilPT2_i,"axG",@progbits,_ZL40rocblas_copy_triangular_syrk_herk_kernelILb1ELb0ELb0E19rocblas_complex_numIfEPKPS1_Li16ELi16EEviT3_ilPT2_i,comdat
	.globl	_ZL40rocblas_copy_triangular_syrk_herk_kernelILb1ELb0ELb0E19rocblas_complex_numIfEPKPS1_Li16ELi16EEviT3_ilPT2_i ; -- Begin function _ZL40rocblas_copy_triangular_syrk_herk_kernelILb1ELb0ELb0E19rocblas_complex_numIfEPKPS1_Li16ELi16EEviT3_ilPT2_i
	.p2align	8
	.type	_ZL40rocblas_copy_triangular_syrk_herk_kernelILb1ELb0ELb0E19rocblas_complex_numIfEPKPS1_Li16ELi16EEviT3_ilPT2_i,@function
_ZL40rocblas_copy_triangular_syrk_herk_kernelILb1ELb0ELb0E19rocblas_complex_numIfEPKPS1_Li16ELi16EEviT3_ilPT2_i: ; @_ZL40rocblas_copy_triangular_syrk_herk_kernelILb1ELb0ELb0E19rocblas_complex_numIfEPKPS1_Li16ELi16EEviT3_ilPT2_i
; %bb.0:
	s_clause 0x1
	s_load_b32 s2, s[0:1], 0x3c
	s_load_b32 s3, s[0:1], 0x0
	v_bfe_u32 v1, v0, 10, 10
	v_and_b32_e32 v4, 0x3ff, v0
	s_waitcnt lgkmcnt(0)
	s_lshr_b32 s5, s2, 16
	s_and_b32 s2, s2, 0xffff
	v_mad_u64_u32 v[2:3], null, s14, s5, v[1:2]
	v_mad_u64_u32 v[0:1], null, s13, s2, v[4:5]
	s_delay_alu instid0(VALU_DEP_1) | instskip(SKIP_1) | instid1(VALU_DEP_2)
	v_max_i32_e32 v1, v2, v0
	v_cmp_lt_i32_e64 s2, v2, v0
	v_cmp_gt_i32_e32 vcc_lo, s3, v1
	s_delay_alu instid0(VALU_DEP_2) | instskip(NEXT) | instid1(SALU_CYCLE_1)
	s_and_b32 s2, s2, vcc_lo
	s_and_saveexec_b32 s5, s2
	s_cbranch_execz .LBB25_2
; %bb.1:
	s_load_b64 s[6:7], s[0:1], 0x20
	s_add_i32 s2, s3, -1
	s_load_b64 s[8:9], s[0:1], 0x8
	s_mul_hi_i32 s5, s2, s3
	s_mul_i32 s2, s2, s3
	s_lshr_b32 s10, s5, 31
	s_mov_b32 s4, s15
	s_add_u32 s10, s2, s10
	s_load_b32 s2, s[0:1], 0x10
	s_addc_u32 s11, s5, 0
	v_ashrrev_i32_e32 v3, 31, v2
	s_ashr_i64 s[10:11], s[10:11], 1
	s_delay_alu instid0(SALU_CYCLE_1)
	s_mul_i32 s1, s11, s15
	s_mul_hi_u32 s5, s10, s15
	s_mul_i32 s0, s10, s15
	s_add_i32 s1, s5, s1
	s_mov_b32 s5, 0
	s_lshl_b64 s[0:1], s[0:1], 3
	v_lshlrev_b64 v[6:7], 3, v[2:3]
	s_waitcnt lgkmcnt(0)
	s_add_u32 s6, s6, s0
	s_addc_u32 s7, s7, s1
	s_lshl_b64 s[0:1], s[4:5], 3
	s_delay_alu instid0(SALU_CYCLE_1) | instskip(SKIP_3) | instid1(VALU_DEP_1)
	s_add_u32 s0, s8, s0
	s_addc_u32 s1, s9, s1
	s_load_b64 s[0:1], s[0:1], 0x0
	v_mad_i64_i32 v[4:5], null, v0, s2, 0
	v_lshlrev_b64 v[4:5], 3, v[4:5]
	s_waitcnt lgkmcnt(0)
	s_delay_alu instid0(VALU_DEP_1) | instskip(NEXT) | instid1(VALU_DEP_2)
	v_add_co_u32 v1, vcc_lo, s0, v4
	v_add_co_ci_u32_e32 v4, vcc_lo, s1, v5, vcc_lo
	s_delay_alu instid0(VALU_DEP_2) | instskip(NEXT) | instid1(VALU_DEP_2)
	v_add_co_u32 v3, vcc_lo, v1, v6
	v_add_co_ci_u32_e32 v4, vcc_lo, v4, v7, vcc_lo
	v_not_b32_e32 v1, v2
	global_load_b64 v[3:4], v[3:4], off
	v_lshl_add_u32 v5, s3, 1, v1
	s_delay_alu instid0(VALU_DEP_1) | instskip(NEXT) | instid1(VALU_DEP_1)
	v_mul_lo_u32 v2, v5, v2
	v_lshrrev_b32_e32 v5, 31, v2
	s_delay_alu instid0(VALU_DEP_1) | instskip(NEXT) | instid1(VALU_DEP_1)
	v_add_nc_u32_e32 v2, v2, v5
	v_ashrrev_i32_e32 v2, 1, v2
	s_delay_alu instid0(VALU_DEP_1) | instskip(NEXT) | instid1(VALU_DEP_1)
	v_add3_u32 v0, v0, v1, v2
	v_ashrrev_i32_e32 v1, 31, v0
	s_delay_alu instid0(VALU_DEP_1) | instskip(NEXT) | instid1(VALU_DEP_1)
	v_lshlrev_b64 v[0:1], 3, v[0:1]
	v_add_co_u32 v0, vcc_lo, s6, v0
	s_delay_alu instid0(VALU_DEP_2)
	v_add_co_ci_u32_e32 v1, vcc_lo, s7, v1, vcc_lo
	s_waitcnt vmcnt(0)
	global_store_b64 v[0:1], v[3:4], off
.LBB25_2:
	s_nop 0
	s_sendmsg sendmsg(MSG_DEALLOC_VGPRS)
	s_endpgm
	.section	.rodata,"a",@progbits
	.p2align	6, 0x0
	.amdhsa_kernel _ZL40rocblas_copy_triangular_syrk_herk_kernelILb1ELb0ELb0E19rocblas_complex_numIfEPKPS1_Li16ELi16EEviT3_ilPT2_i
		.amdhsa_group_segment_fixed_size 0
		.amdhsa_private_segment_fixed_size 0
		.amdhsa_kernarg_size 304
		.amdhsa_user_sgpr_count 13
		.amdhsa_user_sgpr_dispatch_ptr 0
		.amdhsa_user_sgpr_queue_ptr 0
		.amdhsa_user_sgpr_kernarg_segment_ptr 1
		.amdhsa_user_sgpr_dispatch_id 0
		.amdhsa_user_sgpr_private_segment_size 0
		.amdhsa_wavefront_size32 1
		.amdhsa_uses_dynamic_stack 0
		.amdhsa_enable_private_segment 0
		.amdhsa_system_sgpr_workgroup_id_x 1
		.amdhsa_system_sgpr_workgroup_id_y 1
		.amdhsa_system_sgpr_workgroup_id_z 1
		.amdhsa_system_sgpr_workgroup_info 0
		.amdhsa_system_vgpr_workitem_id 1
		.amdhsa_next_free_vgpr 8
		.amdhsa_next_free_sgpr 16
		.amdhsa_reserve_vcc 1
		.amdhsa_float_round_mode_32 0
		.amdhsa_float_round_mode_16_64 0
		.amdhsa_float_denorm_mode_32 3
		.amdhsa_float_denorm_mode_16_64 3
		.amdhsa_dx10_clamp 1
		.amdhsa_ieee_mode 1
		.amdhsa_fp16_overflow 0
		.amdhsa_workgroup_processor_mode 1
		.amdhsa_memory_ordered 1
		.amdhsa_forward_progress 0
		.amdhsa_shared_vgpr_count 0
		.amdhsa_exception_fp_ieee_invalid_op 0
		.amdhsa_exception_fp_denorm_src 0
		.amdhsa_exception_fp_ieee_div_zero 0
		.amdhsa_exception_fp_ieee_overflow 0
		.amdhsa_exception_fp_ieee_underflow 0
		.amdhsa_exception_fp_ieee_inexact 0
		.amdhsa_exception_int_div_zero 0
	.end_amdhsa_kernel
	.section	.text._ZL40rocblas_copy_triangular_syrk_herk_kernelILb1ELb0ELb0E19rocblas_complex_numIfEPKPS1_Li16ELi16EEviT3_ilPT2_i,"axG",@progbits,_ZL40rocblas_copy_triangular_syrk_herk_kernelILb1ELb0ELb0E19rocblas_complex_numIfEPKPS1_Li16ELi16EEviT3_ilPT2_i,comdat
.Lfunc_end25:
	.size	_ZL40rocblas_copy_triangular_syrk_herk_kernelILb1ELb0ELb0E19rocblas_complex_numIfEPKPS1_Li16ELi16EEviT3_ilPT2_i, .Lfunc_end25-_ZL40rocblas_copy_triangular_syrk_herk_kernelILb1ELb0ELb0E19rocblas_complex_numIfEPKPS1_Li16ELi16EEviT3_ilPT2_i
                                        ; -- End function
	.section	.AMDGPU.csdata,"",@progbits
; Kernel info:
; codeLenInByte = 404
; NumSgprs: 18
; NumVgprs: 8
; ScratchSize: 0
; MemoryBound: 0
; FloatMode: 240
; IeeeMode: 1
; LDSByteSize: 0 bytes/workgroup (compile time only)
; SGPRBlocks: 2
; VGPRBlocks: 0
; NumSGPRsForWavesPerEU: 18
; NumVGPRsForWavesPerEU: 8
; Occupancy: 16
; WaveLimiterHint : 1
; COMPUTE_PGM_RSRC2:SCRATCH_EN: 0
; COMPUTE_PGM_RSRC2:USER_SGPR: 13
; COMPUTE_PGM_RSRC2:TRAP_HANDLER: 0
; COMPUTE_PGM_RSRC2:TGID_X_EN: 1
; COMPUTE_PGM_RSRC2:TGID_Y_EN: 1
; COMPUTE_PGM_RSRC2:TGID_Z_EN: 1
; COMPUTE_PGM_RSRC2:TIDIG_COMP_CNT: 1
	.section	.text._ZL40rocblas_copy_triangular_syrk_herk_kernelILb0ELb1ELb0E19rocblas_complex_numIfEPKPS1_Li16ELi16EEviT3_ilPT2_i,"axG",@progbits,_ZL40rocblas_copy_triangular_syrk_herk_kernelILb0ELb1ELb0E19rocblas_complex_numIfEPKPS1_Li16ELi16EEviT3_ilPT2_i,comdat
	.globl	_ZL40rocblas_copy_triangular_syrk_herk_kernelILb0ELb1ELb0E19rocblas_complex_numIfEPKPS1_Li16ELi16EEviT3_ilPT2_i ; -- Begin function _ZL40rocblas_copy_triangular_syrk_herk_kernelILb0ELb1ELb0E19rocblas_complex_numIfEPKPS1_Li16ELi16EEviT3_ilPT2_i
	.p2align	8
	.type	_ZL40rocblas_copy_triangular_syrk_herk_kernelILb0ELb1ELb0E19rocblas_complex_numIfEPKPS1_Li16ELi16EEviT3_ilPT2_i,@function
_ZL40rocblas_copy_triangular_syrk_herk_kernelILb0ELb1ELb0E19rocblas_complex_numIfEPKPS1_Li16ELi16EEviT3_ilPT2_i: ; @_ZL40rocblas_copy_triangular_syrk_herk_kernelILb0ELb1ELb0E19rocblas_complex_numIfEPKPS1_Li16ELi16EEviT3_ilPT2_i
; %bb.0:
	s_clause 0x1
	s_load_b32 s2, s[0:1], 0x3c
	s_load_b32 s3, s[0:1], 0x0
	v_bfe_u32 v2, v0, 10, 10
	v_and_b32_e32 v3, 0x3ff, v0
	s_waitcnt lgkmcnt(0)
	s_lshr_b32 s5, s2, 16
	s_and_b32 s2, s2, 0xffff
	s_delay_alu instid0(VALU_DEP_1) | instskip(SKIP_1) | instid1(VALU_DEP_1)
	v_mad_u64_u32 v[0:1], null, s14, s5, v[2:3]
	v_mad_u64_u32 v[1:2], null, s13, s2, v[3:4]
	v_max_i32_e32 v2, v0, v1
	v_cmp_gt_i32_e64 s2, v0, v1
	s_delay_alu instid0(VALU_DEP_2) | instskip(NEXT) | instid1(VALU_DEP_2)
	v_cmp_gt_i32_e32 vcc_lo, s3, v2
	s_and_b32 s2, s2, vcc_lo
	s_delay_alu instid0(SALU_CYCLE_1)
	s_and_saveexec_b32 s5, s2
	s_cbranch_execz .LBB26_2
; %bb.1:
	v_add_nc_u32_e32 v2, -1, v0
	s_load_b64 s[6:7], s[0:1], 0x20
	s_add_i32 s2, s3, -1
	s_mov_b32 s4, s15
	s_mul_hi_i32 s5, s2, s3
	v_mul_lo_u32 v2, v2, v0
	s_mul_i32 s2, s2, s3
	s_lshr_b32 s3, s5, 31
	s_delay_alu instid0(SALU_CYCLE_1) | instskip(SKIP_1) | instid1(SALU_CYCLE_1)
	s_add_u32 s2, s2, s3
	s_addc_u32 s3, s5, 0
	s_ashr_i64 s[2:3], s[2:3], 1
	s_delay_alu instid0(VALU_DEP_1)
	v_lshrrev_b32_e32 v3, 31, v2
	s_mul_i32 s3, s3, s15
	s_mul_hi_u32 s5, s2, s15
	s_mul_i32 s2, s2, s15
	s_add_i32 s3, s5, s3
	v_add_nc_u32_e32 v2, v2, v3
	s_lshl_b64 s[2:3], s[2:3], 3
	s_mov_b32 s5, 0
	s_waitcnt lgkmcnt(0)
	s_add_u32 s2, s6, s2
	s_addc_u32 s3, s7, s3
	v_ashrrev_i32_e32 v2, 1, v2
	s_delay_alu instid0(VALU_DEP_1) | instskip(NEXT) | instid1(VALU_DEP_1)
	v_add_nc_u32_e32 v2, v2, v1
	v_ashrrev_i32_e32 v3, 31, v2
	s_delay_alu instid0(VALU_DEP_1) | instskip(NEXT) | instid1(VALU_DEP_1)
	v_lshlrev_b64 v[2:3], 3, v[2:3]
	v_add_co_u32 v2, vcc_lo, s2, v2
	s_delay_alu instid0(VALU_DEP_2)
	v_add_co_ci_u32_e32 v3, vcc_lo, s3, v3, vcc_lo
	global_load_b64 v[2:3], v[2:3], off
	s_clause 0x1
	s_load_b64 s[2:3], s[0:1], 0x8
	s_load_b32 s6, s[0:1], 0x10
	s_lshl_b64 s[0:1], s[4:5], 3
	s_waitcnt lgkmcnt(0)
	s_add_u32 s0, s2, s0
	s_addc_u32 s1, s3, s1
	v_mad_i64_i32 v[4:5], null, v1, s6, 0
	s_load_b64 s[0:1], s[0:1], 0x0
	v_ashrrev_i32_e32 v1, 31, v0
	s_delay_alu instid0(VALU_DEP_1) | instskip(NEXT) | instid1(VALU_DEP_3)
	v_lshlrev_b64 v[0:1], 3, v[0:1]
	v_lshlrev_b64 v[4:5], 3, v[4:5]
	s_waitcnt lgkmcnt(0)
	s_delay_alu instid0(VALU_DEP_1) | instskip(NEXT) | instid1(VALU_DEP_2)
	v_add_co_u32 v4, vcc_lo, s0, v4
	v_add_co_ci_u32_e32 v5, vcc_lo, s1, v5, vcc_lo
	s_delay_alu instid0(VALU_DEP_2) | instskip(NEXT) | instid1(VALU_DEP_2)
	v_add_co_u32 v0, vcc_lo, v4, v0
	v_add_co_ci_u32_e32 v1, vcc_lo, v5, v1, vcc_lo
	s_waitcnt vmcnt(0)
	global_store_b64 v[0:1], v[2:3], off
.LBB26_2:
	s_nop 0
	s_sendmsg sendmsg(MSG_DEALLOC_VGPRS)
	s_endpgm
	.section	.rodata,"a",@progbits
	.p2align	6, 0x0
	.amdhsa_kernel _ZL40rocblas_copy_triangular_syrk_herk_kernelILb0ELb1ELb0E19rocblas_complex_numIfEPKPS1_Li16ELi16EEviT3_ilPT2_i
		.amdhsa_group_segment_fixed_size 0
		.amdhsa_private_segment_fixed_size 0
		.amdhsa_kernarg_size 304
		.amdhsa_user_sgpr_count 13
		.amdhsa_user_sgpr_dispatch_ptr 0
		.amdhsa_user_sgpr_queue_ptr 0
		.amdhsa_user_sgpr_kernarg_segment_ptr 1
		.amdhsa_user_sgpr_dispatch_id 0
		.amdhsa_user_sgpr_private_segment_size 0
		.amdhsa_wavefront_size32 1
		.amdhsa_uses_dynamic_stack 0
		.amdhsa_enable_private_segment 0
		.amdhsa_system_sgpr_workgroup_id_x 1
		.amdhsa_system_sgpr_workgroup_id_y 1
		.amdhsa_system_sgpr_workgroup_id_z 1
		.amdhsa_system_sgpr_workgroup_info 0
		.amdhsa_system_vgpr_workitem_id 1
		.amdhsa_next_free_vgpr 6
		.amdhsa_next_free_sgpr 16
		.amdhsa_reserve_vcc 1
		.amdhsa_float_round_mode_32 0
		.amdhsa_float_round_mode_16_64 0
		.amdhsa_float_denorm_mode_32 3
		.amdhsa_float_denorm_mode_16_64 3
		.amdhsa_dx10_clamp 1
		.amdhsa_ieee_mode 1
		.amdhsa_fp16_overflow 0
		.amdhsa_workgroup_processor_mode 1
		.amdhsa_memory_ordered 1
		.amdhsa_forward_progress 0
		.amdhsa_shared_vgpr_count 0
		.amdhsa_exception_fp_ieee_invalid_op 0
		.amdhsa_exception_fp_denorm_src 0
		.amdhsa_exception_fp_ieee_div_zero 0
		.amdhsa_exception_fp_ieee_overflow 0
		.amdhsa_exception_fp_ieee_underflow 0
		.amdhsa_exception_fp_ieee_inexact 0
		.amdhsa_exception_int_div_zero 0
	.end_amdhsa_kernel
	.section	.text._ZL40rocblas_copy_triangular_syrk_herk_kernelILb0ELb1ELb0E19rocblas_complex_numIfEPKPS1_Li16ELi16EEviT3_ilPT2_i,"axG",@progbits,_ZL40rocblas_copy_triangular_syrk_herk_kernelILb0ELb1ELb0E19rocblas_complex_numIfEPKPS1_Li16ELi16EEviT3_ilPT2_i,comdat
.Lfunc_end26:
	.size	_ZL40rocblas_copy_triangular_syrk_herk_kernelILb0ELb1ELb0E19rocblas_complex_numIfEPKPS1_Li16ELi16EEviT3_ilPT2_i, .Lfunc_end26-_ZL40rocblas_copy_triangular_syrk_herk_kernelILb0ELb1ELb0E19rocblas_complex_numIfEPKPS1_Li16ELi16EEviT3_ilPT2_i
                                        ; -- End function
	.section	.AMDGPU.csdata,"",@progbits
; Kernel info:
; codeLenInByte = 400
; NumSgprs: 18
; NumVgprs: 6
; ScratchSize: 0
; MemoryBound: 0
; FloatMode: 240
; IeeeMode: 1
; LDSByteSize: 0 bytes/workgroup (compile time only)
; SGPRBlocks: 2
; VGPRBlocks: 0
; NumSGPRsForWavesPerEU: 18
; NumVGPRsForWavesPerEU: 6
; Occupancy: 16
; WaveLimiterHint : 1
; COMPUTE_PGM_RSRC2:SCRATCH_EN: 0
; COMPUTE_PGM_RSRC2:USER_SGPR: 13
; COMPUTE_PGM_RSRC2:TRAP_HANDLER: 0
; COMPUTE_PGM_RSRC2:TGID_X_EN: 1
; COMPUTE_PGM_RSRC2:TGID_Y_EN: 1
; COMPUTE_PGM_RSRC2:TGID_Z_EN: 1
; COMPUTE_PGM_RSRC2:TIDIG_COMP_CNT: 1
	.section	.text._ZL40rocblas_copy_triangular_syrk_herk_kernelILb0ELb0ELb0E19rocblas_complex_numIfEPKPS1_Li16ELi16EEviT3_ilPT2_i,"axG",@progbits,_ZL40rocblas_copy_triangular_syrk_herk_kernelILb0ELb0ELb0E19rocblas_complex_numIfEPKPS1_Li16ELi16EEviT3_ilPT2_i,comdat
	.globl	_ZL40rocblas_copy_triangular_syrk_herk_kernelILb0ELb0ELb0E19rocblas_complex_numIfEPKPS1_Li16ELi16EEviT3_ilPT2_i ; -- Begin function _ZL40rocblas_copy_triangular_syrk_herk_kernelILb0ELb0ELb0E19rocblas_complex_numIfEPKPS1_Li16ELi16EEviT3_ilPT2_i
	.p2align	8
	.type	_ZL40rocblas_copy_triangular_syrk_herk_kernelILb0ELb0ELb0E19rocblas_complex_numIfEPKPS1_Li16ELi16EEviT3_ilPT2_i,@function
_ZL40rocblas_copy_triangular_syrk_herk_kernelILb0ELb0ELb0E19rocblas_complex_numIfEPKPS1_Li16ELi16EEviT3_ilPT2_i: ; @_ZL40rocblas_copy_triangular_syrk_herk_kernelILb0ELb0ELb0E19rocblas_complex_numIfEPKPS1_Li16ELi16EEviT3_ilPT2_i
; %bb.0:
	s_clause 0x1
	s_load_b32 s2, s[0:1], 0x3c
	s_load_b32 s3, s[0:1], 0x0
	v_bfe_u32 v2, v0, 10, 10
	v_and_b32_e32 v3, 0x3ff, v0
	s_waitcnt lgkmcnt(0)
	s_lshr_b32 s5, s2, 16
	s_and_b32 s2, s2, 0xffff
	s_delay_alu instid0(VALU_DEP_1) | instskip(SKIP_1) | instid1(VALU_DEP_1)
	v_mad_u64_u32 v[0:1], null, s14, s5, v[2:3]
	v_mad_u64_u32 v[1:2], null, s13, s2, v[3:4]
	v_max_i32_e32 v2, v0, v1
	v_cmp_lt_i32_e64 s2, v0, v1
	s_delay_alu instid0(VALU_DEP_2) | instskip(NEXT) | instid1(VALU_DEP_2)
	v_cmp_gt_i32_e32 vcc_lo, s3, v2
	s_and_b32 s2, s2, vcc_lo
	s_delay_alu instid0(SALU_CYCLE_1)
	s_and_saveexec_b32 s5, s2
	s_cbranch_execz .LBB27_2
; %bb.1:
	v_not_b32_e32 v2, v0
	s_load_b64 s[6:7], s[0:1], 0x20
	s_add_i32 s2, s3, -1
	s_mov_b32 s4, s15
	s_mul_hi_i32 s5, s2, s3
	v_lshl_add_u32 v3, s3, 1, v2
	s_mul_i32 s2, s2, s3
	s_lshr_b32 s3, s5, 31
	s_delay_alu instid0(SALU_CYCLE_1) | instskip(NEXT) | instid1(VALU_DEP_1)
	s_add_u32 s2, s2, s3
	v_mul_lo_u32 v3, v3, v0
	s_addc_u32 s3, s5, 0
	s_delay_alu instid0(SALU_CYCLE_1) | instskip(NEXT) | instid1(SALU_CYCLE_1)
	s_ashr_i64 s[2:3], s[2:3], 1
	s_mul_i32 s3, s3, s15
	s_mul_hi_u32 s5, s2, s15
	s_mul_i32 s2, s2, s15
	s_delay_alu instid0(VALU_DEP_1)
	v_lshrrev_b32_e32 v4, 31, v3
	s_add_i32 s3, s5, s3
	s_mov_b32 s5, 0
	s_lshl_b64 s[2:3], s[2:3], 3
	s_waitcnt lgkmcnt(0)
	s_add_u32 s2, s6, s2
	v_add_nc_u32_e32 v3, v3, v4
	s_addc_u32 s3, s7, s3
	s_delay_alu instid0(VALU_DEP_1) | instskip(NEXT) | instid1(VALU_DEP_1)
	v_ashrrev_i32_e32 v3, 1, v3
	v_add3_u32 v2, v1, v2, v3
	s_delay_alu instid0(VALU_DEP_1) | instskip(NEXT) | instid1(VALU_DEP_1)
	v_ashrrev_i32_e32 v3, 31, v2
	v_lshlrev_b64 v[2:3], 3, v[2:3]
	s_delay_alu instid0(VALU_DEP_1) | instskip(NEXT) | instid1(VALU_DEP_2)
	v_add_co_u32 v2, vcc_lo, s2, v2
	v_add_co_ci_u32_e32 v3, vcc_lo, s3, v3, vcc_lo
	global_load_b64 v[2:3], v[2:3], off
	s_clause 0x1
	s_load_b64 s[2:3], s[0:1], 0x8
	s_load_b32 s6, s[0:1], 0x10
	s_lshl_b64 s[0:1], s[4:5], 3
	s_waitcnt lgkmcnt(0)
	s_add_u32 s0, s2, s0
	s_addc_u32 s1, s3, s1
	v_mad_i64_i32 v[4:5], null, v1, s6, 0
	s_load_b64 s[0:1], s[0:1], 0x0
	v_ashrrev_i32_e32 v1, 31, v0
	s_delay_alu instid0(VALU_DEP_1) | instskip(NEXT) | instid1(VALU_DEP_3)
	v_lshlrev_b64 v[0:1], 3, v[0:1]
	v_lshlrev_b64 v[4:5], 3, v[4:5]
	s_waitcnt lgkmcnt(0)
	s_delay_alu instid0(VALU_DEP_1) | instskip(NEXT) | instid1(VALU_DEP_2)
	v_add_co_u32 v4, vcc_lo, s0, v4
	v_add_co_ci_u32_e32 v5, vcc_lo, s1, v5, vcc_lo
	s_delay_alu instid0(VALU_DEP_2) | instskip(NEXT) | instid1(VALU_DEP_2)
	v_add_co_u32 v0, vcc_lo, v4, v0
	v_add_co_ci_u32_e32 v1, vcc_lo, v5, v1, vcc_lo
	s_waitcnt vmcnt(0)
	global_store_b64 v[0:1], v[2:3], off
.LBB27_2:
	s_nop 0
	s_sendmsg sendmsg(MSG_DEALLOC_VGPRS)
	s_endpgm
	.section	.rodata,"a",@progbits
	.p2align	6, 0x0
	.amdhsa_kernel _ZL40rocblas_copy_triangular_syrk_herk_kernelILb0ELb0ELb0E19rocblas_complex_numIfEPKPS1_Li16ELi16EEviT3_ilPT2_i
		.amdhsa_group_segment_fixed_size 0
		.amdhsa_private_segment_fixed_size 0
		.amdhsa_kernarg_size 304
		.amdhsa_user_sgpr_count 13
		.amdhsa_user_sgpr_dispatch_ptr 0
		.amdhsa_user_sgpr_queue_ptr 0
		.amdhsa_user_sgpr_kernarg_segment_ptr 1
		.amdhsa_user_sgpr_dispatch_id 0
		.amdhsa_user_sgpr_private_segment_size 0
		.amdhsa_wavefront_size32 1
		.amdhsa_uses_dynamic_stack 0
		.amdhsa_enable_private_segment 0
		.amdhsa_system_sgpr_workgroup_id_x 1
		.amdhsa_system_sgpr_workgroup_id_y 1
		.amdhsa_system_sgpr_workgroup_id_z 1
		.amdhsa_system_sgpr_workgroup_info 0
		.amdhsa_system_vgpr_workitem_id 1
		.amdhsa_next_free_vgpr 6
		.amdhsa_next_free_sgpr 16
		.amdhsa_reserve_vcc 1
		.amdhsa_float_round_mode_32 0
		.amdhsa_float_round_mode_16_64 0
		.amdhsa_float_denorm_mode_32 3
		.amdhsa_float_denorm_mode_16_64 3
		.amdhsa_dx10_clamp 1
		.amdhsa_ieee_mode 1
		.amdhsa_fp16_overflow 0
		.amdhsa_workgroup_processor_mode 1
		.amdhsa_memory_ordered 1
		.amdhsa_forward_progress 0
		.amdhsa_shared_vgpr_count 0
		.amdhsa_exception_fp_ieee_invalid_op 0
		.amdhsa_exception_fp_denorm_src 0
		.amdhsa_exception_fp_ieee_div_zero 0
		.amdhsa_exception_fp_ieee_overflow 0
		.amdhsa_exception_fp_ieee_underflow 0
		.amdhsa_exception_fp_ieee_inexact 0
		.amdhsa_exception_int_div_zero 0
	.end_amdhsa_kernel
	.section	.text._ZL40rocblas_copy_triangular_syrk_herk_kernelILb0ELb0ELb0E19rocblas_complex_numIfEPKPS1_Li16ELi16EEviT3_ilPT2_i,"axG",@progbits,_ZL40rocblas_copy_triangular_syrk_herk_kernelILb0ELb0ELb0E19rocblas_complex_numIfEPKPS1_Li16ELi16EEviT3_ilPT2_i,comdat
.Lfunc_end27:
	.size	_ZL40rocblas_copy_triangular_syrk_herk_kernelILb0ELb0ELb0E19rocblas_complex_numIfEPKPS1_Li16ELi16EEviT3_ilPT2_i, .Lfunc_end27-_ZL40rocblas_copy_triangular_syrk_herk_kernelILb0ELb0ELb0E19rocblas_complex_numIfEPKPS1_Li16ELi16EEviT3_ilPT2_i
                                        ; -- End function
	.section	.AMDGPU.csdata,"",@progbits
; Kernel info:
; codeLenInByte = 416
; NumSgprs: 18
; NumVgprs: 6
; ScratchSize: 0
; MemoryBound: 0
; FloatMode: 240
; IeeeMode: 1
; LDSByteSize: 0 bytes/workgroup (compile time only)
; SGPRBlocks: 2
; VGPRBlocks: 0
; NumSGPRsForWavesPerEU: 18
; NumVGPRsForWavesPerEU: 6
; Occupancy: 16
; WaveLimiterHint : 1
; COMPUTE_PGM_RSRC2:SCRATCH_EN: 0
; COMPUTE_PGM_RSRC2:USER_SGPR: 13
; COMPUTE_PGM_RSRC2:TRAP_HANDLER: 0
; COMPUTE_PGM_RSRC2:TGID_X_EN: 1
; COMPUTE_PGM_RSRC2:TGID_Y_EN: 1
; COMPUTE_PGM_RSRC2:TGID_Z_EN: 1
; COMPUTE_PGM_RSRC2:TIDIG_COMP_CNT: 1
	.section	.text._ZL40rocblas_copy_triangular_syrk_herk_kernelILb1ELb1ELb0E19rocblas_complex_numIdEPKPS1_Li16ELi16EEviT3_ilPT2_i,"axG",@progbits,_ZL40rocblas_copy_triangular_syrk_herk_kernelILb1ELb1ELb0E19rocblas_complex_numIdEPKPS1_Li16ELi16EEviT3_ilPT2_i,comdat
	.globl	_ZL40rocblas_copy_triangular_syrk_herk_kernelILb1ELb1ELb0E19rocblas_complex_numIdEPKPS1_Li16ELi16EEviT3_ilPT2_i ; -- Begin function _ZL40rocblas_copy_triangular_syrk_herk_kernelILb1ELb1ELb0E19rocblas_complex_numIdEPKPS1_Li16ELi16EEviT3_ilPT2_i
	.p2align	8
	.type	_ZL40rocblas_copy_triangular_syrk_herk_kernelILb1ELb1ELb0E19rocblas_complex_numIdEPKPS1_Li16ELi16EEviT3_ilPT2_i,@function
_ZL40rocblas_copy_triangular_syrk_herk_kernelILb1ELb1ELb0E19rocblas_complex_numIdEPKPS1_Li16ELi16EEviT3_ilPT2_i: ; @_ZL40rocblas_copy_triangular_syrk_herk_kernelILb1ELb1ELb0E19rocblas_complex_numIdEPKPS1_Li16ELi16EEviT3_ilPT2_i
; %bb.0:
	s_clause 0x1
	s_load_b32 s2, s[0:1], 0x3c
	s_load_b32 s3, s[0:1], 0x0
	v_bfe_u32 v1, v0, 10, 10
	v_and_b32_e32 v4, 0x3ff, v0
	s_waitcnt lgkmcnt(0)
	s_lshr_b32 s5, s2, 16
	s_and_b32 s2, s2, 0xffff
	v_mad_u64_u32 v[2:3], null, s14, s5, v[1:2]
	v_mad_u64_u32 v[0:1], null, s13, s2, v[4:5]
	s_delay_alu instid0(VALU_DEP_1) | instskip(SKIP_1) | instid1(VALU_DEP_2)
	v_max_i32_e32 v1, v2, v0
	v_cmp_gt_i32_e64 s2, v2, v0
	v_cmp_gt_i32_e32 vcc_lo, s3, v1
	s_delay_alu instid0(VALU_DEP_2) | instskip(NEXT) | instid1(SALU_CYCLE_1)
	s_and_b32 s2, s2, vcc_lo
	s_and_saveexec_b32 s5, s2
	s_cbranch_execz .LBB28_2
; %bb.1:
	s_clause 0x1
	s_load_b64 s[6:7], s[0:1], 0x20
	s_load_b32 s10, s[0:1], 0x10
	s_add_i32 s2, s3, -1
	s_load_b64 s[8:9], s[0:1], 0x8
	s_mul_hi_i32 s5, s2, s3
	s_mul_i32 s2, s2, s3
	s_lshr_b32 s3, s5, 31
	s_mov_b32 s4, s15
	s_add_u32 s2, s2, s3
	s_addc_u32 s3, s5, 0
	s_mov_b32 s5, 0
	s_ashr_i64 s[2:3], s[2:3], 1
	v_ashrrev_i32_e32 v3, 31, v2
	s_mul_i32 s1, s3, s15
	s_mul_hi_u32 s3, s2, s15
	s_mul_i32 s0, s2, s15
	s_add_i32 s1, s3, s1
	v_lshlrev_b64 v[6:7], 4, v[2:3]
	s_lshl_b64 s[0:1], s[0:1], 4
	s_waitcnt lgkmcnt(0)
	s_add_u32 s2, s6, s0
	s_addc_u32 s3, s7, s1
	s_lshl_b64 s[0:1], s[4:5], 3
	v_mad_i64_i32 v[4:5], null, v0, s10, 0
	s_add_u32 s0, s8, s0
	s_addc_u32 s1, s9, s1
	s_load_b64 s[0:1], s[0:1], 0x0
	s_delay_alu instid0(VALU_DEP_1) | instskip(SKIP_1) | instid1(VALU_DEP_1)
	v_lshlrev_b64 v[4:5], 4, v[4:5]
	s_waitcnt lgkmcnt(0)
	v_add_co_u32 v1, vcc_lo, s0, v4
	s_delay_alu instid0(VALU_DEP_2) | instskip(NEXT) | instid1(VALU_DEP_2)
	v_add_co_ci_u32_e32 v4, vcc_lo, s1, v5, vcc_lo
	v_add_co_u32 v3, vcc_lo, v1, v6
	s_delay_alu instid0(VALU_DEP_2) | instskip(SKIP_3) | instid1(VALU_DEP_1)
	v_add_co_ci_u32_e32 v4, vcc_lo, v4, v7, vcc_lo
	v_add_nc_u32_e32 v1, -1, v2
	global_load_b128 v[3:6], v[3:4], off
	v_mul_lo_u32 v1, v1, v2
	v_lshrrev_b32_e32 v2, 31, v1
	s_delay_alu instid0(VALU_DEP_1) | instskip(NEXT) | instid1(VALU_DEP_1)
	v_add_nc_u32_e32 v1, v1, v2
	v_ashrrev_i32_e32 v1, 1, v1
	s_delay_alu instid0(VALU_DEP_1) | instskip(NEXT) | instid1(VALU_DEP_1)
	v_add_nc_u32_e32 v0, v1, v0
	v_ashrrev_i32_e32 v1, 31, v0
	s_delay_alu instid0(VALU_DEP_1) | instskip(NEXT) | instid1(VALU_DEP_1)
	v_lshlrev_b64 v[0:1], 4, v[0:1]
	v_add_co_u32 v0, vcc_lo, s2, v0
	s_delay_alu instid0(VALU_DEP_2)
	v_add_co_ci_u32_e32 v1, vcc_lo, s3, v1, vcc_lo
	s_waitcnt vmcnt(0)
	global_store_b128 v[0:1], v[3:6], off
.LBB28_2:
	s_nop 0
	s_sendmsg sendmsg(MSG_DEALLOC_VGPRS)
	s_endpgm
	.section	.rodata,"a",@progbits
	.p2align	6, 0x0
	.amdhsa_kernel _ZL40rocblas_copy_triangular_syrk_herk_kernelILb1ELb1ELb0E19rocblas_complex_numIdEPKPS1_Li16ELi16EEviT3_ilPT2_i
		.amdhsa_group_segment_fixed_size 0
		.amdhsa_private_segment_fixed_size 0
		.amdhsa_kernarg_size 304
		.amdhsa_user_sgpr_count 13
		.amdhsa_user_sgpr_dispatch_ptr 0
		.amdhsa_user_sgpr_queue_ptr 0
		.amdhsa_user_sgpr_kernarg_segment_ptr 1
		.amdhsa_user_sgpr_dispatch_id 0
		.amdhsa_user_sgpr_private_segment_size 0
		.amdhsa_wavefront_size32 1
		.amdhsa_uses_dynamic_stack 0
		.amdhsa_enable_private_segment 0
		.amdhsa_system_sgpr_workgroup_id_x 1
		.amdhsa_system_sgpr_workgroup_id_y 1
		.amdhsa_system_sgpr_workgroup_id_z 1
		.amdhsa_system_sgpr_workgroup_info 0
		.amdhsa_system_vgpr_workitem_id 1
		.amdhsa_next_free_vgpr 8
		.amdhsa_next_free_sgpr 16
		.amdhsa_reserve_vcc 1
		.amdhsa_float_round_mode_32 0
		.amdhsa_float_round_mode_16_64 0
		.amdhsa_float_denorm_mode_32 3
		.amdhsa_float_denorm_mode_16_64 3
		.amdhsa_dx10_clamp 1
		.amdhsa_ieee_mode 1
		.amdhsa_fp16_overflow 0
		.amdhsa_workgroup_processor_mode 1
		.amdhsa_memory_ordered 1
		.amdhsa_forward_progress 0
		.amdhsa_shared_vgpr_count 0
		.amdhsa_exception_fp_ieee_invalid_op 0
		.amdhsa_exception_fp_denorm_src 0
		.amdhsa_exception_fp_ieee_div_zero 0
		.amdhsa_exception_fp_ieee_overflow 0
		.amdhsa_exception_fp_ieee_underflow 0
		.amdhsa_exception_fp_ieee_inexact 0
		.amdhsa_exception_int_div_zero 0
	.end_amdhsa_kernel
	.section	.text._ZL40rocblas_copy_triangular_syrk_herk_kernelILb1ELb1ELb0E19rocblas_complex_numIdEPKPS1_Li16ELi16EEviT3_ilPT2_i,"axG",@progbits,_ZL40rocblas_copy_triangular_syrk_herk_kernelILb1ELb1ELb0E19rocblas_complex_numIdEPKPS1_Li16ELi16EEviT3_ilPT2_i,comdat
.Lfunc_end28:
	.size	_ZL40rocblas_copy_triangular_syrk_herk_kernelILb1ELb1ELb0E19rocblas_complex_numIdEPKPS1_Li16ELi16EEviT3_ilPT2_i, .Lfunc_end28-_ZL40rocblas_copy_triangular_syrk_herk_kernelILb1ELb1ELb0E19rocblas_complex_numIdEPKPS1_Li16ELi16EEviT3_ilPT2_i
                                        ; -- End function
	.section	.AMDGPU.csdata,"",@progbits
; Kernel info:
; codeLenInByte = 388
; NumSgprs: 18
; NumVgprs: 8
; ScratchSize: 0
; MemoryBound: 0
; FloatMode: 240
; IeeeMode: 1
; LDSByteSize: 0 bytes/workgroup (compile time only)
; SGPRBlocks: 2
; VGPRBlocks: 0
; NumSGPRsForWavesPerEU: 18
; NumVGPRsForWavesPerEU: 8
; Occupancy: 16
; WaveLimiterHint : 0
; COMPUTE_PGM_RSRC2:SCRATCH_EN: 0
; COMPUTE_PGM_RSRC2:USER_SGPR: 13
; COMPUTE_PGM_RSRC2:TRAP_HANDLER: 0
; COMPUTE_PGM_RSRC2:TGID_X_EN: 1
; COMPUTE_PGM_RSRC2:TGID_Y_EN: 1
; COMPUTE_PGM_RSRC2:TGID_Z_EN: 1
; COMPUTE_PGM_RSRC2:TIDIG_COMP_CNT: 1
	.section	.text._ZL40rocblas_copy_triangular_syrk_herk_kernelILb1ELb0ELb0E19rocblas_complex_numIdEPKPS1_Li16ELi16EEviT3_ilPT2_i,"axG",@progbits,_ZL40rocblas_copy_triangular_syrk_herk_kernelILb1ELb0ELb0E19rocblas_complex_numIdEPKPS1_Li16ELi16EEviT3_ilPT2_i,comdat
	.globl	_ZL40rocblas_copy_triangular_syrk_herk_kernelILb1ELb0ELb0E19rocblas_complex_numIdEPKPS1_Li16ELi16EEviT3_ilPT2_i ; -- Begin function _ZL40rocblas_copy_triangular_syrk_herk_kernelILb1ELb0ELb0E19rocblas_complex_numIdEPKPS1_Li16ELi16EEviT3_ilPT2_i
	.p2align	8
	.type	_ZL40rocblas_copy_triangular_syrk_herk_kernelILb1ELb0ELb0E19rocblas_complex_numIdEPKPS1_Li16ELi16EEviT3_ilPT2_i,@function
_ZL40rocblas_copy_triangular_syrk_herk_kernelILb1ELb0ELb0E19rocblas_complex_numIdEPKPS1_Li16ELi16EEviT3_ilPT2_i: ; @_ZL40rocblas_copy_triangular_syrk_herk_kernelILb1ELb0ELb0E19rocblas_complex_numIdEPKPS1_Li16ELi16EEviT3_ilPT2_i
; %bb.0:
	s_clause 0x1
	s_load_b32 s2, s[0:1], 0x3c
	s_load_b32 s3, s[0:1], 0x0
	v_bfe_u32 v1, v0, 10, 10
	v_and_b32_e32 v4, 0x3ff, v0
	s_waitcnt lgkmcnt(0)
	s_lshr_b32 s5, s2, 16
	s_and_b32 s2, s2, 0xffff
	v_mad_u64_u32 v[2:3], null, s14, s5, v[1:2]
	v_mad_u64_u32 v[0:1], null, s13, s2, v[4:5]
	s_delay_alu instid0(VALU_DEP_1) | instskip(SKIP_1) | instid1(VALU_DEP_2)
	v_max_i32_e32 v1, v2, v0
	v_cmp_lt_i32_e64 s2, v2, v0
	v_cmp_gt_i32_e32 vcc_lo, s3, v1
	s_delay_alu instid0(VALU_DEP_2) | instskip(NEXT) | instid1(SALU_CYCLE_1)
	s_and_b32 s2, s2, vcc_lo
	s_and_saveexec_b32 s5, s2
	s_cbranch_execz .LBB29_2
; %bb.1:
	s_load_b64 s[6:7], s[0:1], 0x20
	s_add_i32 s2, s3, -1
	s_load_b64 s[8:9], s[0:1], 0x8
	s_mul_hi_i32 s5, s2, s3
	s_mul_i32 s2, s2, s3
	s_lshr_b32 s10, s5, 31
	s_mov_b32 s4, s15
	s_add_u32 s10, s2, s10
	s_load_b32 s2, s[0:1], 0x10
	s_addc_u32 s11, s5, 0
	v_ashrrev_i32_e32 v3, 31, v2
	s_ashr_i64 s[10:11], s[10:11], 1
	s_delay_alu instid0(SALU_CYCLE_1)
	s_mul_i32 s1, s11, s15
	s_mul_hi_u32 s5, s10, s15
	s_mul_i32 s0, s10, s15
	s_add_i32 s1, s5, s1
	s_mov_b32 s5, 0
	s_lshl_b64 s[0:1], s[0:1], 4
	v_lshlrev_b64 v[6:7], 4, v[2:3]
	s_waitcnt lgkmcnt(0)
	s_add_u32 s6, s6, s0
	s_addc_u32 s7, s7, s1
	s_lshl_b64 s[0:1], s[4:5], 3
	s_delay_alu instid0(SALU_CYCLE_1) | instskip(SKIP_3) | instid1(VALU_DEP_1)
	s_add_u32 s0, s8, s0
	s_addc_u32 s1, s9, s1
	s_load_b64 s[0:1], s[0:1], 0x0
	v_mad_i64_i32 v[4:5], null, v0, s2, 0
	v_lshlrev_b64 v[4:5], 4, v[4:5]
	s_waitcnt lgkmcnt(0)
	s_delay_alu instid0(VALU_DEP_1) | instskip(NEXT) | instid1(VALU_DEP_2)
	v_add_co_u32 v1, vcc_lo, s0, v4
	v_add_co_ci_u32_e32 v4, vcc_lo, s1, v5, vcc_lo
	s_delay_alu instid0(VALU_DEP_2) | instskip(NEXT) | instid1(VALU_DEP_2)
	v_add_co_u32 v3, vcc_lo, v1, v6
	v_add_co_ci_u32_e32 v4, vcc_lo, v4, v7, vcc_lo
	v_not_b32_e32 v1, v2
	global_load_b128 v[3:6], v[3:4], off
	v_lshl_add_u32 v7, s3, 1, v1
	s_delay_alu instid0(VALU_DEP_1) | instskip(NEXT) | instid1(VALU_DEP_1)
	v_mul_lo_u32 v2, v7, v2
	v_lshrrev_b32_e32 v7, 31, v2
	s_delay_alu instid0(VALU_DEP_1) | instskip(NEXT) | instid1(VALU_DEP_1)
	v_add_nc_u32_e32 v2, v2, v7
	v_ashrrev_i32_e32 v2, 1, v2
	s_delay_alu instid0(VALU_DEP_1) | instskip(NEXT) | instid1(VALU_DEP_1)
	v_add3_u32 v0, v0, v1, v2
	v_ashrrev_i32_e32 v1, 31, v0
	s_delay_alu instid0(VALU_DEP_1) | instskip(NEXT) | instid1(VALU_DEP_1)
	v_lshlrev_b64 v[0:1], 4, v[0:1]
	v_add_co_u32 v0, vcc_lo, s6, v0
	s_delay_alu instid0(VALU_DEP_2)
	v_add_co_ci_u32_e32 v1, vcc_lo, s7, v1, vcc_lo
	s_waitcnt vmcnt(0)
	global_store_b128 v[0:1], v[3:6], off
.LBB29_2:
	s_nop 0
	s_sendmsg sendmsg(MSG_DEALLOC_VGPRS)
	s_endpgm
	.section	.rodata,"a",@progbits
	.p2align	6, 0x0
	.amdhsa_kernel _ZL40rocblas_copy_triangular_syrk_herk_kernelILb1ELb0ELb0E19rocblas_complex_numIdEPKPS1_Li16ELi16EEviT3_ilPT2_i
		.amdhsa_group_segment_fixed_size 0
		.amdhsa_private_segment_fixed_size 0
		.amdhsa_kernarg_size 304
		.amdhsa_user_sgpr_count 13
		.amdhsa_user_sgpr_dispatch_ptr 0
		.amdhsa_user_sgpr_queue_ptr 0
		.amdhsa_user_sgpr_kernarg_segment_ptr 1
		.amdhsa_user_sgpr_dispatch_id 0
		.amdhsa_user_sgpr_private_segment_size 0
		.amdhsa_wavefront_size32 1
		.amdhsa_uses_dynamic_stack 0
		.amdhsa_enable_private_segment 0
		.amdhsa_system_sgpr_workgroup_id_x 1
		.amdhsa_system_sgpr_workgroup_id_y 1
		.amdhsa_system_sgpr_workgroup_id_z 1
		.amdhsa_system_sgpr_workgroup_info 0
		.amdhsa_system_vgpr_workitem_id 1
		.amdhsa_next_free_vgpr 8
		.amdhsa_next_free_sgpr 16
		.amdhsa_reserve_vcc 1
		.amdhsa_float_round_mode_32 0
		.amdhsa_float_round_mode_16_64 0
		.amdhsa_float_denorm_mode_32 3
		.amdhsa_float_denorm_mode_16_64 3
		.amdhsa_dx10_clamp 1
		.amdhsa_ieee_mode 1
		.amdhsa_fp16_overflow 0
		.amdhsa_workgroup_processor_mode 1
		.amdhsa_memory_ordered 1
		.amdhsa_forward_progress 0
		.amdhsa_shared_vgpr_count 0
		.amdhsa_exception_fp_ieee_invalid_op 0
		.amdhsa_exception_fp_denorm_src 0
		.amdhsa_exception_fp_ieee_div_zero 0
		.amdhsa_exception_fp_ieee_overflow 0
		.amdhsa_exception_fp_ieee_underflow 0
		.amdhsa_exception_fp_ieee_inexact 0
		.amdhsa_exception_int_div_zero 0
	.end_amdhsa_kernel
	.section	.text._ZL40rocblas_copy_triangular_syrk_herk_kernelILb1ELb0ELb0E19rocblas_complex_numIdEPKPS1_Li16ELi16EEviT3_ilPT2_i,"axG",@progbits,_ZL40rocblas_copy_triangular_syrk_herk_kernelILb1ELb0ELb0E19rocblas_complex_numIdEPKPS1_Li16ELi16EEviT3_ilPT2_i,comdat
.Lfunc_end29:
	.size	_ZL40rocblas_copy_triangular_syrk_herk_kernelILb1ELb0ELb0E19rocblas_complex_numIdEPKPS1_Li16ELi16EEviT3_ilPT2_i, .Lfunc_end29-_ZL40rocblas_copy_triangular_syrk_herk_kernelILb1ELb0ELb0E19rocblas_complex_numIdEPKPS1_Li16ELi16EEviT3_ilPT2_i
                                        ; -- End function
	.section	.AMDGPU.csdata,"",@progbits
; Kernel info:
; codeLenInByte = 404
; NumSgprs: 18
; NumVgprs: 8
; ScratchSize: 0
; MemoryBound: 0
; FloatMode: 240
; IeeeMode: 1
; LDSByteSize: 0 bytes/workgroup (compile time only)
; SGPRBlocks: 2
; VGPRBlocks: 0
; NumSGPRsForWavesPerEU: 18
; NumVGPRsForWavesPerEU: 8
; Occupancy: 16
; WaveLimiterHint : 0
; COMPUTE_PGM_RSRC2:SCRATCH_EN: 0
; COMPUTE_PGM_RSRC2:USER_SGPR: 13
; COMPUTE_PGM_RSRC2:TRAP_HANDLER: 0
; COMPUTE_PGM_RSRC2:TGID_X_EN: 1
; COMPUTE_PGM_RSRC2:TGID_Y_EN: 1
; COMPUTE_PGM_RSRC2:TGID_Z_EN: 1
; COMPUTE_PGM_RSRC2:TIDIG_COMP_CNT: 1
	.section	.text._ZL40rocblas_copy_triangular_syrk_herk_kernelILb0ELb1ELb0E19rocblas_complex_numIdEPKPS1_Li16ELi16EEviT3_ilPT2_i,"axG",@progbits,_ZL40rocblas_copy_triangular_syrk_herk_kernelILb0ELb1ELb0E19rocblas_complex_numIdEPKPS1_Li16ELi16EEviT3_ilPT2_i,comdat
	.globl	_ZL40rocblas_copy_triangular_syrk_herk_kernelILb0ELb1ELb0E19rocblas_complex_numIdEPKPS1_Li16ELi16EEviT3_ilPT2_i ; -- Begin function _ZL40rocblas_copy_triangular_syrk_herk_kernelILb0ELb1ELb0E19rocblas_complex_numIdEPKPS1_Li16ELi16EEviT3_ilPT2_i
	.p2align	8
	.type	_ZL40rocblas_copy_triangular_syrk_herk_kernelILb0ELb1ELb0E19rocblas_complex_numIdEPKPS1_Li16ELi16EEviT3_ilPT2_i,@function
_ZL40rocblas_copy_triangular_syrk_herk_kernelILb0ELb1ELb0E19rocblas_complex_numIdEPKPS1_Li16ELi16EEviT3_ilPT2_i: ; @_ZL40rocblas_copy_triangular_syrk_herk_kernelILb0ELb1ELb0E19rocblas_complex_numIdEPKPS1_Li16ELi16EEviT3_ilPT2_i
; %bb.0:
	s_clause 0x1
	s_load_b32 s2, s[0:1], 0x3c
	s_load_b32 s3, s[0:1], 0x0
	v_bfe_u32 v2, v0, 10, 10
	v_and_b32_e32 v3, 0x3ff, v0
	s_waitcnt lgkmcnt(0)
	s_lshr_b32 s5, s2, 16
	s_and_b32 s2, s2, 0xffff
	s_delay_alu instid0(VALU_DEP_1) | instskip(SKIP_1) | instid1(VALU_DEP_1)
	v_mad_u64_u32 v[0:1], null, s14, s5, v[2:3]
	v_mad_u64_u32 v[1:2], null, s13, s2, v[3:4]
	v_max_i32_e32 v2, v0, v1
	v_cmp_gt_i32_e64 s2, v0, v1
	s_delay_alu instid0(VALU_DEP_2) | instskip(NEXT) | instid1(VALU_DEP_2)
	v_cmp_gt_i32_e32 vcc_lo, s3, v2
	s_and_b32 s2, s2, vcc_lo
	s_delay_alu instid0(SALU_CYCLE_1)
	s_and_saveexec_b32 s5, s2
	s_cbranch_execz .LBB30_2
; %bb.1:
	v_add_nc_u32_e32 v2, -1, v0
	s_load_b64 s[6:7], s[0:1], 0x20
	s_add_i32 s2, s3, -1
	s_mov_b32 s4, s15
	s_mul_hi_i32 s5, s2, s3
	v_mul_lo_u32 v2, v2, v0
	s_mul_i32 s2, s2, s3
	s_lshr_b32 s3, s5, 31
	s_delay_alu instid0(SALU_CYCLE_1) | instskip(SKIP_1) | instid1(SALU_CYCLE_1)
	s_add_u32 s2, s2, s3
	s_addc_u32 s3, s5, 0
	s_ashr_i64 s[2:3], s[2:3], 1
	s_delay_alu instid0(VALU_DEP_1)
	v_lshrrev_b32_e32 v3, 31, v2
	s_mul_i32 s3, s3, s15
	s_mul_hi_u32 s5, s2, s15
	s_mul_i32 s2, s2, s15
	s_add_i32 s3, s5, s3
	v_add_nc_u32_e32 v2, v2, v3
	s_lshl_b64 s[2:3], s[2:3], 4
	s_mov_b32 s5, 0
	s_waitcnt lgkmcnt(0)
	s_add_u32 s2, s6, s2
	s_addc_u32 s3, s7, s3
	v_ashrrev_i32_e32 v2, 1, v2
	s_delay_alu instid0(VALU_DEP_1) | instskip(NEXT) | instid1(VALU_DEP_1)
	v_add_nc_u32_e32 v2, v2, v1
	v_ashrrev_i32_e32 v3, 31, v2
	s_delay_alu instid0(VALU_DEP_1) | instskip(NEXT) | instid1(VALU_DEP_1)
	v_lshlrev_b64 v[2:3], 4, v[2:3]
	v_add_co_u32 v2, vcc_lo, s2, v2
	s_delay_alu instid0(VALU_DEP_2)
	v_add_co_ci_u32_e32 v3, vcc_lo, s3, v3, vcc_lo
	global_load_b128 v[2:5], v[2:3], off
	s_clause 0x1
	s_load_b64 s[2:3], s[0:1], 0x8
	s_load_b32 s6, s[0:1], 0x10
	s_lshl_b64 s[0:1], s[4:5], 3
	s_waitcnt lgkmcnt(0)
	s_add_u32 s0, s2, s0
	s_addc_u32 s1, s3, s1
	v_mad_i64_i32 v[6:7], null, v1, s6, 0
	s_load_b64 s[0:1], s[0:1], 0x0
	v_ashrrev_i32_e32 v1, 31, v0
	s_delay_alu instid0(VALU_DEP_1) | instskip(NEXT) | instid1(VALU_DEP_3)
	v_lshlrev_b64 v[0:1], 4, v[0:1]
	v_lshlrev_b64 v[6:7], 4, v[6:7]
	s_waitcnt lgkmcnt(0)
	s_delay_alu instid0(VALU_DEP_1) | instskip(NEXT) | instid1(VALU_DEP_2)
	v_add_co_u32 v6, vcc_lo, s0, v6
	v_add_co_ci_u32_e32 v7, vcc_lo, s1, v7, vcc_lo
	s_delay_alu instid0(VALU_DEP_2) | instskip(NEXT) | instid1(VALU_DEP_2)
	v_add_co_u32 v0, vcc_lo, v6, v0
	v_add_co_ci_u32_e32 v1, vcc_lo, v7, v1, vcc_lo
	s_waitcnt vmcnt(0)
	global_store_b128 v[0:1], v[2:5], off
.LBB30_2:
	s_nop 0
	s_sendmsg sendmsg(MSG_DEALLOC_VGPRS)
	s_endpgm
	.section	.rodata,"a",@progbits
	.p2align	6, 0x0
	.amdhsa_kernel _ZL40rocblas_copy_triangular_syrk_herk_kernelILb0ELb1ELb0E19rocblas_complex_numIdEPKPS1_Li16ELi16EEviT3_ilPT2_i
		.amdhsa_group_segment_fixed_size 0
		.amdhsa_private_segment_fixed_size 0
		.amdhsa_kernarg_size 304
		.amdhsa_user_sgpr_count 13
		.amdhsa_user_sgpr_dispatch_ptr 0
		.amdhsa_user_sgpr_queue_ptr 0
		.amdhsa_user_sgpr_kernarg_segment_ptr 1
		.amdhsa_user_sgpr_dispatch_id 0
		.amdhsa_user_sgpr_private_segment_size 0
		.amdhsa_wavefront_size32 1
		.amdhsa_uses_dynamic_stack 0
		.amdhsa_enable_private_segment 0
		.amdhsa_system_sgpr_workgroup_id_x 1
		.amdhsa_system_sgpr_workgroup_id_y 1
		.amdhsa_system_sgpr_workgroup_id_z 1
		.amdhsa_system_sgpr_workgroup_info 0
		.amdhsa_system_vgpr_workitem_id 1
		.amdhsa_next_free_vgpr 8
		.amdhsa_next_free_sgpr 16
		.amdhsa_reserve_vcc 1
		.amdhsa_float_round_mode_32 0
		.amdhsa_float_round_mode_16_64 0
		.amdhsa_float_denorm_mode_32 3
		.amdhsa_float_denorm_mode_16_64 3
		.amdhsa_dx10_clamp 1
		.amdhsa_ieee_mode 1
		.amdhsa_fp16_overflow 0
		.amdhsa_workgroup_processor_mode 1
		.amdhsa_memory_ordered 1
		.amdhsa_forward_progress 0
		.amdhsa_shared_vgpr_count 0
		.amdhsa_exception_fp_ieee_invalid_op 0
		.amdhsa_exception_fp_denorm_src 0
		.amdhsa_exception_fp_ieee_div_zero 0
		.amdhsa_exception_fp_ieee_overflow 0
		.amdhsa_exception_fp_ieee_underflow 0
		.amdhsa_exception_fp_ieee_inexact 0
		.amdhsa_exception_int_div_zero 0
	.end_amdhsa_kernel
	.section	.text._ZL40rocblas_copy_triangular_syrk_herk_kernelILb0ELb1ELb0E19rocblas_complex_numIdEPKPS1_Li16ELi16EEviT3_ilPT2_i,"axG",@progbits,_ZL40rocblas_copy_triangular_syrk_herk_kernelILb0ELb1ELb0E19rocblas_complex_numIdEPKPS1_Li16ELi16EEviT3_ilPT2_i,comdat
.Lfunc_end30:
	.size	_ZL40rocblas_copy_triangular_syrk_herk_kernelILb0ELb1ELb0E19rocblas_complex_numIdEPKPS1_Li16ELi16EEviT3_ilPT2_i, .Lfunc_end30-_ZL40rocblas_copy_triangular_syrk_herk_kernelILb0ELb1ELb0E19rocblas_complex_numIdEPKPS1_Li16ELi16EEviT3_ilPT2_i
                                        ; -- End function
	.section	.AMDGPU.csdata,"",@progbits
; Kernel info:
; codeLenInByte = 400
; NumSgprs: 18
; NumVgprs: 8
; ScratchSize: 0
; MemoryBound: 0
; FloatMode: 240
; IeeeMode: 1
; LDSByteSize: 0 bytes/workgroup (compile time only)
; SGPRBlocks: 2
; VGPRBlocks: 0
; NumSGPRsForWavesPerEU: 18
; NumVGPRsForWavesPerEU: 8
; Occupancy: 16
; WaveLimiterHint : 1
; COMPUTE_PGM_RSRC2:SCRATCH_EN: 0
; COMPUTE_PGM_RSRC2:USER_SGPR: 13
; COMPUTE_PGM_RSRC2:TRAP_HANDLER: 0
; COMPUTE_PGM_RSRC2:TGID_X_EN: 1
; COMPUTE_PGM_RSRC2:TGID_Y_EN: 1
; COMPUTE_PGM_RSRC2:TGID_Z_EN: 1
; COMPUTE_PGM_RSRC2:TIDIG_COMP_CNT: 1
	.section	.text._ZL40rocblas_copy_triangular_syrk_herk_kernelILb0ELb0ELb0E19rocblas_complex_numIdEPKPS1_Li16ELi16EEviT3_ilPT2_i,"axG",@progbits,_ZL40rocblas_copy_triangular_syrk_herk_kernelILb0ELb0ELb0E19rocblas_complex_numIdEPKPS1_Li16ELi16EEviT3_ilPT2_i,comdat
	.globl	_ZL40rocblas_copy_triangular_syrk_herk_kernelILb0ELb0ELb0E19rocblas_complex_numIdEPKPS1_Li16ELi16EEviT3_ilPT2_i ; -- Begin function _ZL40rocblas_copy_triangular_syrk_herk_kernelILb0ELb0ELb0E19rocblas_complex_numIdEPKPS1_Li16ELi16EEviT3_ilPT2_i
	.p2align	8
	.type	_ZL40rocblas_copy_triangular_syrk_herk_kernelILb0ELb0ELb0E19rocblas_complex_numIdEPKPS1_Li16ELi16EEviT3_ilPT2_i,@function
_ZL40rocblas_copy_triangular_syrk_herk_kernelILb0ELb0ELb0E19rocblas_complex_numIdEPKPS1_Li16ELi16EEviT3_ilPT2_i: ; @_ZL40rocblas_copy_triangular_syrk_herk_kernelILb0ELb0ELb0E19rocblas_complex_numIdEPKPS1_Li16ELi16EEviT3_ilPT2_i
; %bb.0:
	s_clause 0x1
	s_load_b32 s2, s[0:1], 0x3c
	s_load_b32 s3, s[0:1], 0x0
	v_bfe_u32 v2, v0, 10, 10
	v_and_b32_e32 v3, 0x3ff, v0
	s_waitcnt lgkmcnt(0)
	s_lshr_b32 s5, s2, 16
	s_and_b32 s2, s2, 0xffff
	s_delay_alu instid0(VALU_DEP_1) | instskip(SKIP_1) | instid1(VALU_DEP_1)
	v_mad_u64_u32 v[0:1], null, s14, s5, v[2:3]
	v_mad_u64_u32 v[1:2], null, s13, s2, v[3:4]
	v_max_i32_e32 v2, v0, v1
	v_cmp_lt_i32_e64 s2, v0, v1
	s_delay_alu instid0(VALU_DEP_2) | instskip(NEXT) | instid1(VALU_DEP_2)
	v_cmp_gt_i32_e32 vcc_lo, s3, v2
	s_and_b32 s2, s2, vcc_lo
	s_delay_alu instid0(SALU_CYCLE_1)
	s_and_saveexec_b32 s5, s2
	s_cbranch_execz .LBB31_2
; %bb.1:
	v_not_b32_e32 v2, v0
	s_load_b64 s[6:7], s[0:1], 0x20
	s_add_i32 s2, s3, -1
	s_mov_b32 s4, s15
	s_mul_hi_i32 s5, s2, s3
	v_lshl_add_u32 v3, s3, 1, v2
	s_mul_i32 s2, s2, s3
	s_lshr_b32 s3, s5, 31
	s_delay_alu instid0(SALU_CYCLE_1) | instskip(NEXT) | instid1(VALU_DEP_1)
	s_add_u32 s2, s2, s3
	v_mul_lo_u32 v3, v3, v0
	s_addc_u32 s3, s5, 0
	s_delay_alu instid0(SALU_CYCLE_1) | instskip(NEXT) | instid1(SALU_CYCLE_1)
	s_ashr_i64 s[2:3], s[2:3], 1
	s_mul_i32 s3, s3, s15
	s_mul_hi_u32 s5, s2, s15
	s_mul_i32 s2, s2, s15
	s_delay_alu instid0(VALU_DEP_1)
	v_lshrrev_b32_e32 v4, 31, v3
	s_add_i32 s3, s5, s3
	s_mov_b32 s5, 0
	s_lshl_b64 s[2:3], s[2:3], 4
	s_waitcnt lgkmcnt(0)
	s_add_u32 s2, s6, s2
	v_add_nc_u32_e32 v3, v3, v4
	s_addc_u32 s3, s7, s3
	s_delay_alu instid0(VALU_DEP_1) | instskip(NEXT) | instid1(VALU_DEP_1)
	v_ashrrev_i32_e32 v3, 1, v3
	v_add3_u32 v2, v1, v2, v3
	s_delay_alu instid0(VALU_DEP_1) | instskip(NEXT) | instid1(VALU_DEP_1)
	v_ashrrev_i32_e32 v3, 31, v2
	v_lshlrev_b64 v[2:3], 4, v[2:3]
	s_delay_alu instid0(VALU_DEP_1) | instskip(NEXT) | instid1(VALU_DEP_2)
	v_add_co_u32 v2, vcc_lo, s2, v2
	v_add_co_ci_u32_e32 v3, vcc_lo, s3, v3, vcc_lo
	global_load_b128 v[2:5], v[2:3], off
	s_clause 0x1
	s_load_b64 s[2:3], s[0:1], 0x8
	s_load_b32 s6, s[0:1], 0x10
	s_lshl_b64 s[0:1], s[4:5], 3
	s_waitcnt lgkmcnt(0)
	s_add_u32 s0, s2, s0
	s_addc_u32 s1, s3, s1
	v_mad_i64_i32 v[6:7], null, v1, s6, 0
	s_load_b64 s[0:1], s[0:1], 0x0
	v_ashrrev_i32_e32 v1, 31, v0
	s_delay_alu instid0(VALU_DEP_1) | instskip(NEXT) | instid1(VALU_DEP_3)
	v_lshlrev_b64 v[0:1], 4, v[0:1]
	v_lshlrev_b64 v[6:7], 4, v[6:7]
	s_waitcnt lgkmcnt(0)
	s_delay_alu instid0(VALU_DEP_1) | instskip(NEXT) | instid1(VALU_DEP_2)
	v_add_co_u32 v6, vcc_lo, s0, v6
	v_add_co_ci_u32_e32 v7, vcc_lo, s1, v7, vcc_lo
	s_delay_alu instid0(VALU_DEP_2) | instskip(NEXT) | instid1(VALU_DEP_2)
	v_add_co_u32 v0, vcc_lo, v6, v0
	v_add_co_ci_u32_e32 v1, vcc_lo, v7, v1, vcc_lo
	s_waitcnt vmcnt(0)
	global_store_b128 v[0:1], v[2:5], off
.LBB31_2:
	s_nop 0
	s_sendmsg sendmsg(MSG_DEALLOC_VGPRS)
	s_endpgm
	.section	.rodata,"a",@progbits
	.p2align	6, 0x0
	.amdhsa_kernel _ZL40rocblas_copy_triangular_syrk_herk_kernelILb0ELb0ELb0E19rocblas_complex_numIdEPKPS1_Li16ELi16EEviT3_ilPT2_i
		.amdhsa_group_segment_fixed_size 0
		.amdhsa_private_segment_fixed_size 0
		.amdhsa_kernarg_size 304
		.amdhsa_user_sgpr_count 13
		.amdhsa_user_sgpr_dispatch_ptr 0
		.amdhsa_user_sgpr_queue_ptr 0
		.amdhsa_user_sgpr_kernarg_segment_ptr 1
		.amdhsa_user_sgpr_dispatch_id 0
		.amdhsa_user_sgpr_private_segment_size 0
		.amdhsa_wavefront_size32 1
		.amdhsa_uses_dynamic_stack 0
		.amdhsa_enable_private_segment 0
		.amdhsa_system_sgpr_workgroup_id_x 1
		.amdhsa_system_sgpr_workgroup_id_y 1
		.amdhsa_system_sgpr_workgroup_id_z 1
		.amdhsa_system_sgpr_workgroup_info 0
		.amdhsa_system_vgpr_workitem_id 1
		.amdhsa_next_free_vgpr 8
		.amdhsa_next_free_sgpr 16
		.amdhsa_reserve_vcc 1
		.amdhsa_float_round_mode_32 0
		.amdhsa_float_round_mode_16_64 0
		.amdhsa_float_denorm_mode_32 3
		.amdhsa_float_denorm_mode_16_64 3
		.amdhsa_dx10_clamp 1
		.amdhsa_ieee_mode 1
		.amdhsa_fp16_overflow 0
		.amdhsa_workgroup_processor_mode 1
		.amdhsa_memory_ordered 1
		.amdhsa_forward_progress 0
		.amdhsa_shared_vgpr_count 0
		.amdhsa_exception_fp_ieee_invalid_op 0
		.amdhsa_exception_fp_denorm_src 0
		.amdhsa_exception_fp_ieee_div_zero 0
		.amdhsa_exception_fp_ieee_overflow 0
		.amdhsa_exception_fp_ieee_underflow 0
		.amdhsa_exception_fp_ieee_inexact 0
		.amdhsa_exception_int_div_zero 0
	.end_amdhsa_kernel
	.section	.text._ZL40rocblas_copy_triangular_syrk_herk_kernelILb0ELb0ELb0E19rocblas_complex_numIdEPKPS1_Li16ELi16EEviT3_ilPT2_i,"axG",@progbits,_ZL40rocblas_copy_triangular_syrk_herk_kernelILb0ELb0ELb0E19rocblas_complex_numIdEPKPS1_Li16ELi16EEviT3_ilPT2_i,comdat
.Lfunc_end31:
	.size	_ZL40rocblas_copy_triangular_syrk_herk_kernelILb0ELb0ELb0E19rocblas_complex_numIdEPKPS1_Li16ELi16EEviT3_ilPT2_i, .Lfunc_end31-_ZL40rocblas_copy_triangular_syrk_herk_kernelILb0ELb0ELb0E19rocblas_complex_numIdEPKPS1_Li16ELi16EEviT3_ilPT2_i
                                        ; -- End function
	.section	.AMDGPU.csdata,"",@progbits
; Kernel info:
; codeLenInByte = 416
; NumSgprs: 18
; NumVgprs: 8
; ScratchSize: 0
; MemoryBound: 0
; FloatMode: 240
; IeeeMode: 1
; LDSByteSize: 0 bytes/workgroup (compile time only)
; SGPRBlocks: 2
; VGPRBlocks: 0
; NumSGPRsForWavesPerEU: 18
; NumVGPRsForWavesPerEU: 8
; Occupancy: 16
; WaveLimiterHint : 1
; COMPUTE_PGM_RSRC2:SCRATCH_EN: 0
; COMPUTE_PGM_RSRC2:USER_SGPR: 13
; COMPUTE_PGM_RSRC2:TRAP_HANDLER: 0
; COMPUTE_PGM_RSRC2:TGID_X_EN: 1
; COMPUTE_PGM_RSRC2:TGID_Y_EN: 1
; COMPUTE_PGM_RSRC2:TGID_Z_EN: 1
; COMPUTE_PGM_RSRC2:TIDIG_COMP_CNT: 1
	.section	.text._ZL40rocblas_copy_triangular_syrk_herk_kernelILb1ELb1ELb1E19rocblas_complex_numIfEPS1_Li16ELi16EEviT3_ilPT2_i,"axG",@progbits,_ZL40rocblas_copy_triangular_syrk_herk_kernelILb1ELb1ELb1E19rocblas_complex_numIfEPS1_Li16ELi16EEviT3_ilPT2_i,comdat
	.globl	_ZL40rocblas_copy_triangular_syrk_herk_kernelILb1ELb1ELb1E19rocblas_complex_numIfEPS1_Li16ELi16EEviT3_ilPT2_i ; -- Begin function _ZL40rocblas_copy_triangular_syrk_herk_kernelILb1ELb1ELb1E19rocblas_complex_numIfEPS1_Li16ELi16EEviT3_ilPT2_i
	.p2align	8
	.type	_ZL40rocblas_copy_triangular_syrk_herk_kernelILb1ELb1ELb1E19rocblas_complex_numIfEPS1_Li16ELi16EEviT3_ilPT2_i,@function
_ZL40rocblas_copy_triangular_syrk_herk_kernelILb1ELb1ELb1E19rocblas_complex_numIfEPS1_Li16ELi16EEviT3_ilPT2_i: ; @_ZL40rocblas_copy_triangular_syrk_herk_kernelILb1ELb1ELb1E19rocblas_complex_numIfEPS1_Li16ELi16EEviT3_ilPT2_i
; %bb.0:
	s_clause 0x1
	s_load_b32 s2, s[0:1], 0x3c
	s_load_b32 s3, s[0:1], 0x0
	v_bfe_u32 v1, v0, 10, 10
	v_and_b32_e32 v4, 0x3ff, v0
	s_waitcnt lgkmcnt(0)
	s_lshr_b32 s4, s2, 16
	s_and_b32 s2, s2, 0xffff
	v_mad_u64_u32 v[2:3], null, s14, s4, v[1:2]
	v_mad_u64_u32 v[0:1], null, s13, s2, v[4:5]
	s_delay_alu instid0(VALU_DEP_1) | instskip(SKIP_1) | instid1(VALU_DEP_2)
	v_max_i32_e32 v1, v2, v0
	v_cmp_gt_i32_e64 s2, v2, v0
	v_cmp_gt_i32_e32 vcc_lo, s3, v1
	s_delay_alu instid0(VALU_DEP_2) | instskip(NEXT) | instid1(SALU_CYCLE_1)
	s_and_b32 s2, s2, vcc_lo
	s_and_saveexec_b32 s4, s2
	s_cbranch_execz .LBB32_2
; %bb.1:
	s_clause 0x1
	s_load_b32 s8, s[0:1], 0x10
	s_load_b128 s[4:7], s[0:1], 0x18
	s_add_i32 s2, s3, -1
	s_load_b64 s[0:1], s[0:1], 0x8
	s_mul_hi_i32 s9, s2, s3
	s_mul_i32 s2, s2, s3
	s_lshr_b32 s3, s9, 31
	v_ashrrev_i32_e32 v3, 31, v2
	s_add_u32 s2, s2, s3
	s_addc_u32 s3, s9, 0
	s_delay_alu instid0(SALU_CYCLE_1) | instskip(NEXT) | instid1(VALU_DEP_1)
	s_ashr_i64 s[2:3], s[2:3], 1
	v_lshlrev_b64 v[6:7], 3, v[2:3]
	s_mul_i32 s3, s3, s15
	s_mul_hi_u32 s9, s2, s15
	s_mul_i32 s2, s2, s15
	s_add_i32 s3, s9, s3
	s_delay_alu instid0(SALU_CYCLE_1)
	s_lshl_b64 s[2:3], s[2:3], 3
	s_waitcnt lgkmcnt(0)
	v_mad_i64_i32 v[4:5], null, v0, s8, 0
	s_mul_i32 s5, s15, s5
	s_mul_hi_u32 s8, s15, s4
	s_add_u32 s6, s6, s2
	s_mul_i32 s2, s15, s4
	s_addc_u32 s4, s7, s3
	s_add_i32 s3, s8, s5
	s_delay_alu instid0(VALU_DEP_1) | instskip(SKIP_1) | instid1(SALU_CYCLE_1)
	v_lshlrev_b64 v[4:5], 3, v[4:5]
	s_lshl_b64 s[2:3], s[2:3], 3
	s_add_u32 s0, s0, s2
	s_addc_u32 s1, s1, s3
	s_delay_alu instid0(VALU_DEP_1) | instskip(NEXT) | instid1(VALU_DEP_2)
	v_add_co_u32 v1, vcc_lo, s0, v4
	v_add_co_ci_u32_e32 v4, vcc_lo, s1, v5, vcc_lo
	s_delay_alu instid0(VALU_DEP_2) | instskip(NEXT) | instid1(VALU_DEP_2)
	v_add_co_u32 v3, vcc_lo, v1, v6
	v_add_co_ci_u32_e32 v4, vcc_lo, v4, v7, vcc_lo
	v_add_nc_u32_e32 v1, -1, v2
	global_load_b64 v[3:4], v[3:4], off
	v_mul_lo_u32 v1, v1, v2
	s_delay_alu instid0(VALU_DEP_1) | instskip(NEXT) | instid1(VALU_DEP_1)
	v_lshrrev_b32_e32 v2, 31, v1
	v_add_nc_u32_e32 v1, v1, v2
	s_delay_alu instid0(VALU_DEP_1) | instskip(NEXT) | instid1(VALU_DEP_1)
	v_ashrrev_i32_e32 v1, 1, v1
	v_add_nc_u32_e32 v0, v1, v0
	s_delay_alu instid0(VALU_DEP_1) | instskip(NEXT) | instid1(VALU_DEP_1)
	v_ashrrev_i32_e32 v1, 31, v0
	v_lshlrev_b64 v[0:1], 3, v[0:1]
	s_delay_alu instid0(VALU_DEP_1) | instskip(NEXT) | instid1(VALU_DEP_2)
	v_add_co_u32 v0, vcc_lo, s6, v0
	v_add_co_ci_u32_e32 v1, vcc_lo, s4, v1, vcc_lo
	s_waitcnt vmcnt(0)
	global_store_b64 v[0:1], v[3:4], off
.LBB32_2:
	s_nop 0
	s_sendmsg sendmsg(MSG_DEALLOC_VGPRS)
	s_endpgm
	.section	.rodata,"a",@progbits
	.p2align	6, 0x0
	.amdhsa_kernel _ZL40rocblas_copy_triangular_syrk_herk_kernelILb1ELb1ELb1E19rocblas_complex_numIfEPS1_Li16ELi16EEviT3_ilPT2_i
		.amdhsa_group_segment_fixed_size 0
		.amdhsa_private_segment_fixed_size 0
		.amdhsa_kernarg_size 304
		.amdhsa_user_sgpr_count 13
		.amdhsa_user_sgpr_dispatch_ptr 0
		.amdhsa_user_sgpr_queue_ptr 0
		.amdhsa_user_sgpr_kernarg_segment_ptr 1
		.amdhsa_user_sgpr_dispatch_id 0
		.amdhsa_user_sgpr_private_segment_size 0
		.amdhsa_wavefront_size32 1
		.amdhsa_uses_dynamic_stack 0
		.amdhsa_enable_private_segment 0
		.amdhsa_system_sgpr_workgroup_id_x 1
		.amdhsa_system_sgpr_workgroup_id_y 1
		.amdhsa_system_sgpr_workgroup_id_z 1
		.amdhsa_system_sgpr_workgroup_info 0
		.amdhsa_system_vgpr_workitem_id 1
		.amdhsa_next_free_vgpr 8
		.amdhsa_next_free_sgpr 16
		.amdhsa_reserve_vcc 1
		.amdhsa_float_round_mode_32 0
		.amdhsa_float_round_mode_16_64 0
		.amdhsa_float_denorm_mode_32 3
		.amdhsa_float_denorm_mode_16_64 3
		.amdhsa_dx10_clamp 1
		.amdhsa_ieee_mode 1
		.amdhsa_fp16_overflow 0
		.amdhsa_workgroup_processor_mode 1
		.amdhsa_memory_ordered 1
		.amdhsa_forward_progress 0
		.amdhsa_shared_vgpr_count 0
		.amdhsa_exception_fp_ieee_invalid_op 0
		.amdhsa_exception_fp_denorm_src 0
		.amdhsa_exception_fp_ieee_div_zero 0
		.amdhsa_exception_fp_ieee_overflow 0
		.amdhsa_exception_fp_ieee_underflow 0
		.amdhsa_exception_fp_ieee_inexact 0
		.amdhsa_exception_int_div_zero 0
	.end_amdhsa_kernel
	.section	.text._ZL40rocblas_copy_triangular_syrk_herk_kernelILb1ELb1ELb1E19rocblas_complex_numIfEPS1_Li16ELi16EEviT3_ilPT2_i,"axG",@progbits,_ZL40rocblas_copy_triangular_syrk_herk_kernelILb1ELb1ELb1E19rocblas_complex_numIfEPS1_Li16ELi16EEviT3_ilPT2_i,comdat
.Lfunc_end32:
	.size	_ZL40rocblas_copy_triangular_syrk_herk_kernelILb1ELb1ELb1E19rocblas_complex_numIfEPS1_Li16ELi16EEviT3_ilPT2_i, .Lfunc_end32-_ZL40rocblas_copy_triangular_syrk_herk_kernelILb1ELb1ELb1E19rocblas_complex_numIfEPS1_Li16ELi16EEviT3_ilPT2_i
                                        ; -- End function
	.section	.AMDGPU.csdata,"",@progbits
; Kernel info:
; codeLenInByte = 392
; NumSgprs: 18
; NumVgprs: 8
; ScratchSize: 0
; MemoryBound: 0
; FloatMode: 240
; IeeeMode: 1
; LDSByteSize: 0 bytes/workgroup (compile time only)
; SGPRBlocks: 2
; VGPRBlocks: 0
; NumSGPRsForWavesPerEU: 18
; NumVGPRsForWavesPerEU: 8
; Occupancy: 16
; WaveLimiterHint : 0
; COMPUTE_PGM_RSRC2:SCRATCH_EN: 0
; COMPUTE_PGM_RSRC2:USER_SGPR: 13
; COMPUTE_PGM_RSRC2:TRAP_HANDLER: 0
; COMPUTE_PGM_RSRC2:TGID_X_EN: 1
; COMPUTE_PGM_RSRC2:TGID_Y_EN: 1
; COMPUTE_PGM_RSRC2:TGID_Z_EN: 1
; COMPUTE_PGM_RSRC2:TIDIG_COMP_CNT: 1
	.section	.text._ZL40rocblas_copy_triangular_syrk_herk_kernelILb1ELb0ELb1E19rocblas_complex_numIfEPS1_Li16ELi16EEviT3_ilPT2_i,"axG",@progbits,_ZL40rocblas_copy_triangular_syrk_herk_kernelILb1ELb0ELb1E19rocblas_complex_numIfEPS1_Li16ELi16EEviT3_ilPT2_i,comdat
	.globl	_ZL40rocblas_copy_triangular_syrk_herk_kernelILb1ELb0ELb1E19rocblas_complex_numIfEPS1_Li16ELi16EEviT3_ilPT2_i ; -- Begin function _ZL40rocblas_copy_triangular_syrk_herk_kernelILb1ELb0ELb1E19rocblas_complex_numIfEPS1_Li16ELi16EEviT3_ilPT2_i
	.p2align	8
	.type	_ZL40rocblas_copy_triangular_syrk_herk_kernelILb1ELb0ELb1E19rocblas_complex_numIfEPS1_Li16ELi16EEviT3_ilPT2_i,@function
_ZL40rocblas_copy_triangular_syrk_herk_kernelILb1ELb0ELb1E19rocblas_complex_numIfEPS1_Li16ELi16EEviT3_ilPT2_i: ; @_ZL40rocblas_copy_triangular_syrk_herk_kernelILb1ELb0ELb1E19rocblas_complex_numIfEPS1_Li16ELi16EEviT3_ilPT2_i
; %bb.0:
	s_clause 0x1
	s_load_b32 s2, s[0:1], 0x3c
	s_load_b32 s3, s[0:1], 0x0
	v_bfe_u32 v1, v0, 10, 10
	v_and_b32_e32 v4, 0x3ff, v0
	s_waitcnt lgkmcnt(0)
	s_lshr_b32 s4, s2, 16
	s_and_b32 s2, s2, 0xffff
	v_mad_u64_u32 v[2:3], null, s14, s4, v[1:2]
	v_mad_u64_u32 v[0:1], null, s13, s2, v[4:5]
	s_delay_alu instid0(VALU_DEP_1) | instskip(SKIP_1) | instid1(VALU_DEP_2)
	v_max_i32_e32 v1, v2, v0
	v_cmp_lt_i32_e64 s2, v2, v0
	v_cmp_gt_i32_e32 vcc_lo, s3, v1
	s_delay_alu instid0(VALU_DEP_2) | instskip(NEXT) | instid1(SALU_CYCLE_1)
	s_and_b32 s2, s2, vcc_lo
	s_and_saveexec_b32 s4, s2
	s_cbranch_execz .LBB33_2
; %bb.1:
	s_clause 0x1
	s_load_b32 s2, s[0:1], 0x10
	s_load_b128 s[4:7], s[0:1], 0x18
	s_add_i32 s8, s3, -1
	s_load_b64 s[0:1], s[0:1], 0x8
	s_mul_hi_i32 s9, s8, s3
	s_mul_i32 s8, s8, s3
	s_lshr_b32 s10, s9, 31
	v_ashrrev_i32_e32 v3, 31, v2
	s_add_u32 s8, s8, s10
	s_addc_u32 s9, s9, 0
	s_delay_alu instid0(SALU_CYCLE_1) | instskip(NEXT) | instid1(VALU_DEP_1)
	s_ashr_i64 s[8:9], s[8:9], 1
	v_lshlrev_b64 v[6:7], 3, v[2:3]
	s_mul_i32 s9, s9, s15
	s_mul_hi_u32 s10, s8, s15
	s_mul_i32 s8, s8, s15
	s_add_i32 s9, s10, s9
	s_delay_alu instid0(SALU_CYCLE_1)
	s_lshl_b64 s[8:9], s[8:9], 3
	s_waitcnt lgkmcnt(0)
	v_mad_i64_i32 v[4:5], null, v0, s2, 0
	s_add_u32 s2, s6, s8
	s_mul_i32 s5, s15, s5
	s_mul_hi_u32 s6, s15, s4
	s_mul_i32 s4, s15, s4
	s_addc_u32 s7, s7, s9
	s_add_i32 s5, s6, s5
	s_delay_alu instid0(VALU_DEP_1) | instskip(SKIP_1) | instid1(SALU_CYCLE_1)
	v_lshlrev_b64 v[4:5], 3, v[4:5]
	s_lshl_b64 s[4:5], s[4:5], 3
	s_add_u32 s0, s0, s4
	s_addc_u32 s1, s1, s5
	s_delay_alu instid0(VALU_DEP_1) | instskip(NEXT) | instid1(VALU_DEP_2)
	v_add_co_u32 v1, vcc_lo, s0, v4
	v_add_co_ci_u32_e32 v4, vcc_lo, s1, v5, vcc_lo
	s_delay_alu instid0(VALU_DEP_2) | instskip(NEXT) | instid1(VALU_DEP_2)
	v_add_co_u32 v3, vcc_lo, v1, v6
	v_add_co_ci_u32_e32 v4, vcc_lo, v4, v7, vcc_lo
	v_not_b32_e32 v1, v2
	global_load_b64 v[3:4], v[3:4], off
	v_lshl_add_u32 v5, s3, 1, v1
	s_delay_alu instid0(VALU_DEP_1) | instskip(NEXT) | instid1(VALU_DEP_1)
	v_mul_lo_u32 v2, v5, v2
	v_lshrrev_b32_e32 v5, 31, v2
	s_delay_alu instid0(VALU_DEP_1) | instskip(NEXT) | instid1(VALU_DEP_1)
	v_add_nc_u32_e32 v2, v2, v5
	v_ashrrev_i32_e32 v2, 1, v2
	s_delay_alu instid0(VALU_DEP_1) | instskip(NEXT) | instid1(VALU_DEP_1)
	v_add3_u32 v0, v0, v1, v2
	v_ashrrev_i32_e32 v1, 31, v0
	s_delay_alu instid0(VALU_DEP_1) | instskip(NEXT) | instid1(VALU_DEP_1)
	v_lshlrev_b64 v[0:1], 3, v[0:1]
	v_add_co_u32 v0, vcc_lo, s2, v0
	s_delay_alu instid0(VALU_DEP_2)
	v_add_co_ci_u32_e32 v1, vcc_lo, s7, v1, vcc_lo
	s_waitcnt vmcnt(0)
	global_store_b64 v[0:1], v[3:4], off
.LBB33_2:
	s_nop 0
	s_sendmsg sendmsg(MSG_DEALLOC_VGPRS)
	s_endpgm
	.section	.rodata,"a",@progbits
	.p2align	6, 0x0
	.amdhsa_kernel _ZL40rocblas_copy_triangular_syrk_herk_kernelILb1ELb0ELb1E19rocblas_complex_numIfEPS1_Li16ELi16EEviT3_ilPT2_i
		.amdhsa_group_segment_fixed_size 0
		.amdhsa_private_segment_fixed_size 0
		.amdhsa_kernarg_size 304
		.amdhsa_user_sgpr_count 13
		.amdhsa_user_sgpr_dispatch_ptr 0
		.amdhsa_user_sgpr_queue_ptr 0
		.amdhsa_user_sgpr_kernarg_segment_ptr 1
		.amdhsa_user_sgpr_dispatch_id 0
		.amdhsa_user_sgpr_private_segment_size 0
		.amdhsa_wavefront_size32 1
		.amdhsa_uses_dynamic_stack 0
		.amdhsa_enable_private_segment 0
		.amdhsa_system_sgpr_workgroup_id_x 1
		.amdhsa_system_sgpr_workgroup_id_y 1
		.amdhsa_system_sgpr_workgroup_id_z 1
		.amdhsa_system_sgpr_workgroup_info 0
		.amdhsa_system_vgpr_workitem_id 1
		.amdhsa_next_free_vgpr 8
		.amdhsa_next_free_sgpr 16
		.amdhsa_reserve_vcc 1
		.amdhsa_float_round_mode_32 0
		.amdhsa_float_round_mode_16_64 0
		.amdhsa_float_denorm_mode_32 3
		.amdhsa_float_denorm_mode_16_64 3
		.amdhsa_dx10_clamp 1
		.amdhsa_ieee_mode 1
		.amdhsa_fp16_overflow 0
		.amdhsa_workgroup_processor_mode 1
		.amdhsa_memory_ordered 1
		.amdhsa_forward_progress 0
		.amdhsa_shared_vgpr_count 0
		.amdhsa_exception_fp_ieee_invalid_op 0
		.amdhsa_exception_fp_denorm_src 0
		.amdhsa_exception_fp_ieee_div_zero 0
		.amdhsa_exception_fp_ieee_overflow 0
		.amdhsa_exception_fp_ieee_underflow 0
		.amdhsa_exception_fp_ieee_inexact 0
		.amdhsa_exception_int_div_zero 0
	.end_amdhsa_kernel
	.section	.text._ZL40rocblas_copy_triangular_syrk_herk_kernelILb1ELb0ELb1E19rocblas_complex_numIfEPS1_Li16ELi16EEviT3_ilPT2_i,"axG",@progbits,_ZL40rocblas_copy_triangular_syrk_herk_kernelILb1ELb0ELb1E19rocblas_complex_numIfEPS1_Li16ELi16EEviT3_ilPT2_i,comdat
.Lfunc_end33:
	.size	_ZL40rocblas_copy_triangular_syrk_herk_kernelILb1ELb0ELb1E19rocblas_complex_numIfEPS1_Li16ELi16EEviT3_ilPT2_i, .Lfunc_end33-_ZL40rocblas_copy_triangular_syrk_herk_kernelILb1ELb0ELb1E19rocblas_complex_numIfEPS1_Li16ELi16EEviT3_ilPT2_i
                                        ; -- End function
	.section	.AMDGPU.csdata,"",@progbits
; Kernel info:
; codeLenInByte = 408
; NumSgprs: 18
; NumVgprs: 8
; ScratchSize: 0
; MemoryBound: 0
; FloatMode: 240
; IeeeMode: 1
; LDSByteSize: 0 bytes/workgroup (compile time only)
; SGPRBlocks: 2
; VGPRBlocks: 0
; NumSGPRsForWavesPerEU: 18
; NumVGPRsForWavesPerEU: 8
; Occupancy: 16
; WaveLimiterHint : 0
; COMPUTE_PGM_RSRC2:SCRATCH_EN: 0
; COMPUTE_PGM_RSRC2:USER_SGPR: 13
; COMPUTE_PGM_RSRC2:TRAP_HANDLER: 0
; COMPUTE_PGM_RSRC2:TGID_X_EN: 1
; COMPUTE_PGM_RSRC2:TGID_Y_EN: 1
; COMPUTE_PGM_RSRC2:TGID_Z_EN: 1
; COMPUTE_PGM_RSRC2:TIDIG_COMP_CNT: 1
	.section	.text._ZL40rocblas_copy_triangular_syrk_herk_kernelILb0ELb1ELb1E19rocblas_complex_numIfEPS1_Li16ELi16EEviT3_ilPT2_i,"axG",@progbits,_ZL40rocblas_copy_triangular_syrk_herk_kernelILb0ELb1ELb1E19rocblas_complex_numIfEPS1_Li16ELi16EEviT3_ilPT2_i,comdat
	.globl	_ZL40rocblas_copy_triangular_syrk_herk_kernelILb0ELb1ELb1E19rocblas_complex_numIfEPS1_Li16ELi16EEviT3_ilPT2_i ; -- Begin function _ZL40rocblas_copy_triangular_syrk_herk_kernelILb0ELb1ELb1E19rocblas_complex_numIfEPS1_Li16ELi16EEviT3_ilPT2_i
	.p2align	8
	.type	_ZL40rocblas_copy_triangular_syrk_herk_kernelILb0ELb1ELb1E19rocblas_complex_numIfEPS1_Li16ELi16EEviT3_ilPT2_i,@function
_ZL40rocblas_copy_triangular_syrk_herk_kernelILb0ELb1ELb1E19rocblas_complex_numIfEPS1_Li16ELi16EEviT3_ilPT2_i: ; @_ZL40rocblas_copy_triangular_syrk_herk_kernelILb0ELb1ELb1E19rocblas_complex_numIfEPS1_Li16ELi16EEviT3_ilPT2_i
; %bb.0:
	s_clause 0x4
	s_load_b128 s[4:7], s[0:1], 0x18
	s_load_b64 s[10:11], s[0:1], 0x8
	s_load_b32 s9, s[0:1], 0x3c
	s_load_b32 s8, s[0:1], 0x0
	;; [unrolled: 1-line block ×3, first 2 shown]
	v_bfe_u32 v2, v0, 10, 10
	v_and_b32_e32 v4, 0x3ff, v0
	s_waitcnt lgkmcnt(0)
	s_mul_i32 s1, s15, s5
	s_mul_hi_u32 s3, s15, s4
	s_mul_i32 s0, s15, s4
	s_add_i32 s1, s3, s1
	s_delay_alu instid0(SALU_CYCLE_1) | instskip(NEXT) | instid1(SALU_CYCLE_1)
	s_lshl_b64 s[0:1], s[0:1], 3
	s_add_u32 s3, s10, s0
	s_addc_u32 s4, s11, s1
	s_lshr_b32 s0, s9, 16
	s_and_b32 s1, s9, 0xffff
	v_mad_u64_u32 v[0:1], null, s14, s0, v[2:3]
	v_mad_u64_u32 v[2:3], null, s13, s1, v[4:5]
	s_delay_alu instid0(VALU_DEP_2) | instskip(SKIP_1) | instid1(VALU_DEP_3)
	v_cmp_gt_i32_e32 vcc_lo, s8, v0
	v_ashrrev_i32_e32 v1, 31, v0
	v_cmp_gt_i32_e64 s0, s8, v2
	v_cmp_gt_i32_e64 s1, v0, v2
	s_delay_alu instid0(VALU_DEP_2)
	s_and_b32 s0, s0, vcc_lo
	s_delay_alu instid0(VALU_DEP_1) | instid1(SALU_CYCLE_1)
	s_and_b32 s0, s0, s1
	s_delay_alu instid0(SALU_CYCLE_1)
	s_and_saveexec_b32 s1, s0
	s_cbranch_execz .LBB34_2
; %bb.1:
	v_add_nc_u32_e32 v3, -1, v0
	s_add_i32 s0, s8, -1
	v_mad_i64_i32 v[5:6], null, v2, s2, 0
	s_mul_hi_i32 s5, s0, s8
	s_delay_alu instid0(VALU_DEP_2)
	v_mul_lo_u32 v3, v3, v0
	s_mul_i32 s0, s0, s8
	s_lshr_b32 s8, s5, 31
	v_lshlrev_b64 v[7:8], 3, v[0:1]
	s_add_u32 s8, s0, s8
	s_addc_u32 s9, s5, 0
	v_lshlrev_b64 v[5:6], 3, v[5:6]
	s_ashr_i64 s[8:9], s[8:9], 1
	v_lshrrev_b32_e32 v4, 31, v3
	s_mul_i32 s0, s9, s15
	s_mul_hi_u32 s5, s8, s15
	s_mul_i32 s8, s8, s15
	s_add_i32 s9, s5, s0
	v_add_nc_u32_e32 v3, v3, v4
	s_lshl_b64 s[8:9], s[8:9], 3
	s_delay_alu instid0(SALU_CYCLE_1) | instskip(SKIP_1) | instid1(VALU_DEP_1)
	s_add_u32 s0, s6, s8
	s_addc_u32 s5, s7, s9
	v_ashrrev_i32_e32 v3, 1, v3
	s_delay_alu instid0(VALU_DEP_1) | instskip(NEXT) | instid1(VALU_DEP_1)
	v_add_nc_u32_e32 v3, v3, v2
	v_ashrrev_i32_e32 v4, 31, v3
	s_delay_alu instid0(VALU_DEP_1) | instskip(NEXT) | instid1(VALU_DEP_1)
	v_lshlrev_b64 v[3:4], 3, v[3:4]
	v_add_co_u32 v3, s0, s0, v3
	s_delay_alu instid0(VALU_DEP_1) | instskip(SKIP_1) | instid1(VALU_DEP_1)
	v_add_co_ci_u32_e64 v4, s0, s5, v4, s0
	v_add_co_u32 v5, s0, s3, v5
	v_add_co_ci_u32_e64 v6, s0, s4, v6, s0
	global_load_b64 v[3:4], v[3:4], off
	v_add_co_u32 v5, s0, v5, v7
	s_delay_alu instid0(VALU_DEP_1)
	v_add_co_ci_u32_e64 v6, s0, v6, v8, s0
	s_waitcnt vmcnt(0)
	global_store_b64 v[5:6], v[3:4], off
.LBB34_2:
	s_or_b32 exec_lo, exec_lo, s1
	v_cmp_eq_u32_e64 s0, v0, v2
	s_delay_alu instid0(VALU_DEP_1) | instskip(NEXT) | instid1(SALU_CYCLE_1)
	s_and_b32 s0, vcc_lo, s0
	s_and_saveexec_b32 s1, s0
	s_cbranch_execz .LBB34_4
; %bb.3:
	v_mad_i64_i32 v[2:3], null, v0, s2, v[0:1]
	s_delay_alu instid0(VALU_DEP_1) | instskip(SKIP_1) | instid1(VALU_DEP_2)
	v_lshlrev_b64 v[0:1], 3, v[2:3]
	v_mov_b32_e32 v2, 0
	v_add_co_u32 v0, vcc_lo, s3, v0
	s_delay_alu instid0(VALU_DEP_3)
	v_add_co_ci_u32_e32 v1, vcc_lo, s4, v1, vcc_lo
	global_store_b32 v[0:1], v2, off offset:4
.LBB34_4:
	s_nop 0
	s_sendmsg sendmsg(MSG_DEALLOC_VGPRS)
	s_endpgm
	.section	.rodata,"a",@progbits
	.p2align	6, 0x0
	.amdhsa_kernel _ZL40rocblas_copy_triangular_syrk_herk_kernelILb0ELb1ELb1E19rocblas_complex_numIfEPS1_Li16ELi16EEviT3_ilPT2_i
		.amdhsa_group_segment_fixed_size 0
		.amdhsa_private_segment_fixed_size 0
		.amdhsa_kernarg_size 304
		.amdhsa_user_sgpr_count 13
		.amdhsa_user_sgpr_dispatch_ptr 0
		.amdhsa_user_sgpr_queue_ptr 0
		.amdhsa_user_sgpr_kernarg_segment_ptr 1
		.amdhsa_user_sgpr_dispatch_id 0
		.amdhsa_user_sgpr_private_segment_size 0
		.amdhsa_wavefront_size32 1
		.amdhsa_uses_dynamic_stack 0
		.amdhsa_enable_private_segment 0
		.amdhsa_system_sgpr_workgroup_id_x 1
		.amdhsa_system_sgpr_workgroup_id_y 1
		.amdhsa_system_sgpr_workgroup_id_z 1
		.amdhsa_system_sgpr_workgroup_info 0
		.amdhsa_system_vgpr_workitem_id 1
		.amdhsa_next_free_vgpr 9
		.amdhsa_next_free_sgpr 16
		.amdhsa_reserve_vcc 1
		.amdhsa_float_round_mode_32 0
		.amdhsa_float_round_mode_16_64 0
		.amdhsa_float_denorm_mode_32 3
		.amdhsa_float_denorm_mode_16_64 3
		.amdhsa_dx10_clamp 1
		.amdhsa_ieee_mode 1
		.amdhsa_fp16_overflow 0
		.amdhsa_workgroup_processor_mode 1
		.amdhsa_memory_ordered 1
		.amdhsa_forward_progress 0
		.amdhsa_shared_vgpr_count 0
		.amdhsa_exception_fp_ieee_invalid_op 0
		.amdhsa_exception_fp_denorm_src 0
		.amdhsa_exception_fp_ieee_div_zero 0
		.amdhsa_exception_fp_ieee_overflow 0
		.amdhsa_exception_fp_ieee_underflow 0
		.amdhsa_exception_fp_ieee_inexact 0
		.amdhsa_exception_int_div_zero 0
	.end_amdhsa_kernel
	.section	.text._ZL40rocblas_copy_triangular_syrk_herk_kernelILb0ELb1ELb1E19rocblas_complex_numIfEPS1_Li16ELi16EEviT3_ilPT2_i,"axG",@progbits,_ZL40rocblas_copy_triangular_syrk_herk_kernelILb0ELb1ELb1E19rocblas_complex_numIfEPS1_Li16ELi16EEviT3_ilPT2_i,comdat
.Lfunc_end34:
	.size	_ZL40rocblas_copy_triangular_syrk_herk_kernelILb0ELb1ELb1E19rocblas_complex_numIfEPS1_Li16ELi16EEviT3_ilPT2_i, .Lfunc_end34-_ZL40rocblas_copy_triangular_syrk_herk_kernelILb0ELb1ELb1E19rocblas_complex_numIfEPS1_Li16ELi16EEviT3_ilPT2_i
                                        ; -- End function
	.section	.AMDGPU.csdata,"",@progbits
; Kernel info:
; codeLenInByte = 480
; NumSgprs: 18
; NumVgprs: 9
; ScratchSize: 0
; MemoryBound: 0
; FloatMode: 240
; IeeeMode: 1
; LDSByteSize: 0 bytes/workgroup (compile time only)
; SGPRBlocks: 2
; VGPRBlocks: 1
; NumSGPRsForWavesPerEU: 18
; NumVGPRsForWavesPerEU: 9
; Occupancy: 16
; WaveLimiterHint : 0
; COMPUTE_PGM_RSRC2:SCRATCH_EN: 0
; COMPUTE_PGM_RSRC2:USER_SGPR: 13
; COMPUTE_PGM_RSRC2:TRAP_HANDLER: 0
; COMPUTE_PGM_RSRC2:TGID_X_EN: 1
; COMPUTE_PGM_RSRC2:TGID_Y_EN: 1
; COMPUTE_PGM_RSRC2:TGID_Z_EN: 1
; COMPUTE_PGM_RSRC2:TIDIG_COMP_CNT: 1
	.section	.text._ZL40rocblas_copy_triangular_syrk_herk_kernelILb0ELb0ELb1E19rocblas_complex_numIfEPS1_Li16ELi16EEviT3_ilPT2_i,"axG",@progbits,_ZL40rocblas_copy_triangular_syrk_herk_kernelILb0ELb0ELb1E19rocblas_complex_numIfEPS1_Li16ELi16EEviT3_ilPT2_i,comdat
	.globl	_ZL40rocblas_copy_triangular_syrk_herk_kernelILb0ELb0ELb1E19rocblas_complex_numIfEPS1_Li16ELi16EEviT3_ilPT2_i ; -- Begin function _ZL40rocblas_copy_triangular_syrk_herk_kernelILb0ELb0ELb1E19rocblas_complex_numIfEPS1_Li16ELi16EEviT3_ilPT2_i
	.p2align	8
	.type	_ZL40rocblas_copy_triangular_syrk_herk_kernelILb0ELb0ELb1E19rocblas_complex_numIfEPS1_Li16ELi16EEviT3_ilPT2_i,@function
_ZL40rocblas_copy_triangular_syrk_herk_kernelILb0ELb0ELb1E19rocblas_complex_numIfEPS1_Li16ELi16EEviT3_ilPT2_i: ; @_ZL40rocblas_copy_triangular_syrk_herk_kernelILb0ELb0ELb1E19rocblas_complex_numIfEPS1_Li16ELi16EEviT3_ilPT2_i
; %bb.0:
	s_clause 0x4
	s_load_b128 s[4:7], s[0:1], 0x18
	s_load_b64 s[10:11], s[0:1], 0x8
	s_load_b32 s9, s[0:1], 0x3c
	s_load_b32 s8, s[0:1], 0x0
	;; [unrolled: 1-line block ×3, first 2 shown]
	v_bfe_u32 v4, v0, 10, 10
	v_and_b32_e32 v0, 0x3ff, v0
	s_waitcnt lgkmcnt(0)
	s_mul_i32 s1, s15, s5
	s_mul_hi_u32 s3, s15, s4
	s_mul_i32 s0, s15, s4
	s_add_i32 s1, s3, s1
	s_delay_alu instid0(SALU_CYCLE_1) | instskip(NEXT) | instid1(SALU_CYCLE_1)
	s_lshl_b64 s[0:1], s[0:1], 3
	s_add_u32 s3, s10, s0
	s_addc_u32 s4, s11, s1
	s_lshr_b32 s0, s9, 16
	s_and_b32 s1, s9, 0xffff
	s_delay_alu instid0(SALU_CYCLE_1) | instskip(SKIP_1) | instid1(VALU_DEP_2)
	v_mad_u64_u32 v[2:3], null, s13, s1, v[0:1]
	v_mad_u64_u32 v[0:1], null, s14, s0, v[4:5]
	v_cmp_gt_i32_e64 s0, s8, v2
	s_delay_alu instid0(VALU_DEP_2) | instskip(SKIP_2) | instid1(VALU_DEP_3)
	v_cmp_lt_i32_e64 s1, v0, v2
	v_cmp_gt_i32_e32 vcc_lo, s8, v0
	v_ashrrev_i32_e32 v1, 31, v0
	s_and_b32 s0, s0, s1
	s_delay_alu instid0(SALU_CYCLE_1) | instskip(NEXT) | instid1(SALU_CYCLE_1)
	s_and_b32 s0, vcc_lo, s0
	s_and_saveexec_b32 s1, s0
	s_cbranch_execz .LBB35_2
; %bb.1:
	v_not_b32_e32 v3, v0
	s_add_i32 s0, s8, -1
	v_lshlrev_b64 v[7:8], 3, v[0:1]
	s_mul_hi_i32 s5, s0, s8
	s_mul_i32 s0, s0, s8
	v_lshl_add_u32 v4, s8, 1, v3
	s_lshr_b32 s8, s5, 31
	s_delay_alu instid0(SALU_CYCLE_1) | instskip(SKIP_1) | instid1(VALU_DEP_1)
	s_add_u32 s8, s0, s8
	s_addc_u32 s9, s5, 0
	v_mul_lo_u32 v4, v4, v0
	s_ashr_i64 s[8:9], s[8:9], 1
	s_delay_alu instid0(SALU_CYCLE_1) | instskip(SKIP_3) | instid1(SALU_CYCLE_1)
	s_mul_i32 s0, s9, s15
	s_mul_hi_u32 s5, s8, s15
	s_mul_i32 s8, s8, s15
	s_add_i32 s9, s5, s0
	s_lshl_b64 s[8:9], s[8:9], 3
	s_delay_alu instid0(VALU_DEP_1) | instskip(SKIP_2) | instid1(VALU_DEP_1)
	v_lshrrev_b32_e32 v5, 31, v4
	s_add_u32 s0, s6, s8
	s_addc_u32 s5, s7, s9
	v_add_nc_u32_e32 v4, v4, v5
	v_mad_i64_i32 v[5:6], null, v2, s2, 0
	s_delay_alu instid0(VALU_DEP_2) | instskip(NEXT) | instid1(VALU_DEP_2)
	v_ashrrev_i32_e32 v4, 1, v4
	v_lshlrev_b64 v[5:6], 3, v[5:6]
	s_delay_alu instid0(VALU_DEP_2) | instskip(NEXT) | instid1(VALU_DEP_1)
	v_add3_u32 v3, v2, v3, v4
	v_ashrrev_i32_e32 v4, 31, v3
	s_delay_alu instid0(VALU_DEP_1) | instskip(NEXT) | instid1(VALU_DEP_1)
	v_lshlrev_b64 v[3:4], 3, v[3:4]
	v_add_co_u32 v3, s0, s0, v3
	s_delay_alu instid0(VALU_DEP_1) | instskip(SKIP_1) | instid1(VALU_DEP_1)
	v_add_co_ci_u32_e64 v4, s0, s5, v4, s0
	v_add_co_u32 v5, s0, s3, v5
	v_add_co_ci_u32_e64 v6, s0, s4, v6, s0
	global_load_b64 v[3:4], v[3:4], off
	v_add_co_u32 v5, s0, v5, v7
	s_delay_alu instid0(VALU_DEP_1)
	v_add_co_ci_u32_e64 v6, s0, v6, v8, s0
	s_waitcnt vmcnt(0)
	global_store_b64 v[5:6], v[3:4], off
.LBB35_2:
	s_or_b32 exec_lo, exec_lo, s1
	v_cmp_eq_u32_e64 s0, v0, v2
	s_delay_alu instid0(VALU_DEP_1) | instskip(NEXT) | instid1(SALU_CYCLE_1)
	s_and_b32 s0, vcc_lo, s0
	s_and_saveexec_b32 s1, s0
	s_cbranch_execz .LBB35_4
; %bb.3:
	v_mad_i64_i32 v[2:3], null, v0, s2, v[0:1]
	s_delay_alu instid0(VALU_DEP_1) | instskip(SKIP_1) | instid1(VALU_DEP_2)
	v_lshlrev_b64 v[0:1], 3, v[2:3]
	v_mov_b32_e32 v2, 0
	v_add_co_u32 v0, vcc_lo, s3, v0
	s_delay_alu instid0(VALU_DEP_3)
	v_add_co_ci_u32_e32 v1, vcc_lo, s4, v1, vcc_lo
	global_store_b32 v[0:1], v2, off offset:4
.LBB35_4:
	s_nop 0
	s_sendmsg sendmsg(MSG_DEALLOC_VGPRS)
	s_endpgm
	.section	.rodata,"a",@progbits
	.p2align	6, 0x0
	.amdhsa_kernel _ZL40rocblas_copy_triangular_syrk_herk_kernelILb0ELb0ELb1E19rocblas_complex_numIfEPS1_Li16ELi16EEviT3_ilPT2_i
		.amdhsa_group_segment_fixed_size 0
		.amdhsa_private_segment_fixed_size 0
		.amdhsa_kernarg_size 304
		.amdhsa_user_sgpr_count 13
		.amdhsa_user_sgpr_dispatch_ptr 0
		.amdhsa_user_sgpr_queue_ptr 0
		.amdhsa_user_sgpr_kernarg_segment_ptr 1
		.amdhsa_user_sgpr_dispatch_id 0
		.amdhsa_user_sgpr_private_segment_size 0
		.amdhsa_wavefront_size32 1
		.amdhsa_uses_dynamic_stack 0
		.amdhsa_enable_private_segment 0
		.amdhsa_system_sgpr_workgroup_id_x 1
		.amdhsa_system_sgpr_workgroup_id_y 1
		.amdhsa_system_sgpr_workgroup_id_z 1
		.amdhsa_system_sgpr_workgroup_info 0
		.amdhsa_system_vgpr_workitem_id 1
		.amdhsa_next_free_vgpr 9
		.amdhsa_next_free_sgpr 16
		.amdhsa_reserve_vcc 1
		.amdhsa_float_round_mode_32 0
		.amdhsa_float_round_mode_16_64 0
		.amdhsa_float_denorm_mode_32 3
		.amdhsa_float_denorm_mode_16_64 3
		.amdhsa_dx10_clamp 1
		.amdhsa_ieee_mode 1
		.amdhsa_fp16_overflow 0
		.amdhsa_workgroup_processor_mode 1
		.amdhsa_memory_ordered 1
		.amdhsa_forward_progress 0
		.amdhsa_shared_vgpr_count 0
		.amdhsa_exception_fp_ieee_invalid_op 0
		.amdhsa_exception_fp_denorm_src 0
		.amdhsa_exception_fp_ieee_div_zero 0
		.amdhsa_exception_fp_ieee_overflow 0
		.amdhsa_exception_fp_ieee_underflow 0
		.amdhsa_exception_fp_ieee_inexact 0
		.amdhsa_exception_int_div_zero 0
	.end_amdhsa_kernel
	.section	.text._ZL40rocblas_copy_triangular_syrk_herk_kernelILb0ELb0ELb1E19rocblas_complex_numIfEPS1_Li16ELi16EEviT3_ilPT2_i,"axG",@progbits,_ZL40rocblas_copy_triangular_syrk_herk_kernelILb0ELb0ELb1E19rocblas_complex_numIfEPS1_Li16ELi16EEviT3_ilPT2_i,comdat
.Lfunc_end35:
	.size	_ZL40rocblas_copy_triangular_syrk_herk_kernelILb0ELb0ELb1E19rocblas_complex_numIfEPS1_Li16ELi16EEviT3_ilPT2_i, .Lfunc_end35-_ZL40rocblas_copy_triangular_syrk_herk_kernelILb0ELb0ELb1E19rocblas_complex_numIfEPS1_Li16ELi16EEviT3_ilPT2_i
                                        ; -- End function
	.section	.AMDGPU.csdata,"",@progbits
; Kernel info:
; codeLenInByte = 496
; NumSgprs: 18
; NumVgprs: 9
; ScratchSize: 0
; MemoryBound: 0
; FloatMode: 240
; IeeeMode: 1
; LDSByteSize: 0 bytes/workgroup (compile time only)
; SGPRBlocks: 2
; VGPRBlocks: 1
; NumSGPRsForWavesPerEU: 18
; NumVGPRsForWavesPerEU: 9
; Occupancy: 16
; WaveLimiterHint : 0
; COMPUTE_PGM_RSRC2:SCRATCH_EN: 0
; COMPUTE_PGM_RSRC2:USER_SGPR: 13
; COMPUTE_PGM_RSRC2:TRAP_HANDLER: 0
; COMPUTE_PGM_RSRC2:TGID_X_EN: 1
; COMPUTE_PGM_RSRC2:TGID_Y_EN: 1
; COMPUTE_PGM_RSRC2:TGID_Z_EN: 1
; COMPUTE_PGM_RSRC2:TIDIG_COMP_CNT: 1
	.section	.text._ZL40rocblas_copy_triangular_syrk_herk_kernelILb1ELb1ELb1E19rocblas_complex_numIdEPS1_Li16ELi16EEviT3_ilPT2_i,"axG",@progbits,_ZL40rocblas_copy_triangular_syrk_herk_kernelILb1ELb1ELb1E19rocblas_complex_numIdEPS1_Li16ELi16EEviT3_ilPT2_i,comdat
	.globl	_ZL40rocblas_copy_triangular_syrk_herk_kernelILb1ELb1ELb1E19rocblas_complex_numIdEPS1_Li16ELi16EEviT3_ilPT2_i ; -- Begin function _ZL40rocblas_copy_triangular_syrk_herk_kernelILb1ELb1ELb1E19rocblas_complex_numIdEPS1_Li16ELi16EEviT3_ilPT2_i
	.p2align	8
	.type	_ZL40rocblas_copy_triangular_syrk_herk_kernelILb1ELb1ELb1E19rocblas_complex_numIdEPS1_Li16ELi16EEviT3_ilPT2_i,@function
_ZL40rocblas_copy_triangular_syrk_herk_kernelILb1ELb1ELb1E19rocblas_complex_numIdEPS1_Li16ELi16EEviT3_ilPT2_i: ; @_ZL40rocblas_copy_triangular_syrk_herk_kernelILb1ELb1ELb1E19rocblas_complex_numIdEPS1_Li16ELi16EEviT3_ilPT2_i
; %bb.0:
	s_clause 0x1
	s_load_b32 s2, s[0:1], 0x3c
	s_load_b32 s3, s[0:1], 0x0
	v_bfe_u32 v1, v0, 10, 10
	v_and_b32_e32 v4, 0x3ff, v0
	s_waitcnt lgkmcnt(0)
	s_lshr_b32 s4, s2, 16
	s_and_b32 s2, s2, 0xffff
	v_mad_u64_u32 v[2:3], null, s14, s4, v[1:2]
	v_mad_u64_u32 v[0:1], null, s13, s2, v[4:5]
	s_delay_alu instid0(VALU_DEP_1) | instskip(SKIP_1) | instid1(VALU_DEP_2)
	v_max_i32_e32 v1, v2, v0
	v_cmp_gt_i32_e64 s2, v2, v0
	v_cmp_gt_i32_e32 vcc_lo, s3, v1
	s_delay_alu instid0(VALU_DEP_2) | instskip(NEXT) | instid1(SALU_CYCLE_1)
	s_and_b32 s2, s2, vcc_lo
	s_and_saveexec_b32 s4, s2
	s_cbranch_execz .LBB36_2
; %bb.1:
	s_clause 0x1
	s_load_b32 s8, s[0:1], 0x10
	s_load_b128 s[4:7], s[0:1], 0x18
	s_add_i32 s2, s3, -1
	s_load_b64 s[0:1], s[0:1], 0x8
	s_mul_hi_i32 s9, s2, s3
	s_mul_i32 s2, s2, s3
	s_lshr_b32 s3, s9, 31
	v_ashrrev_i32_e32 v3, 31, v2
	s_add_u32 s2, s2, s3
	s_addc_u32 s3, s9, 0
	s_delay_alu instid0(SALU_CYCLE_1) | instskip(NEXT) | instid1(VALU_DEP_1)
	s_ashr_i64 s[2:3], s[2:3], 1
	v_lshlrev_b64 v[6:7], 4, v[2:3]
	s_mul_i32 s3, s3, s15
	s_mul_hi_u32 s9, s2, s15
	s_mul_i32 s2, s2, s15
	s_add_i32 s3, s9, s3
	s_delay_alu instid0(SALU_CYCLE_1)
	s_lshl_b64 s[2:3], s[2:3], 4
	s_waitcnt lgkmcnt(0)
	v_mad_i64_i32 v[4:5], null, v0, s8, 0
	s_mul_i32 s5, s15, s5
	s_mul_hi_u32 s8, s15, s4
	s_add_u32 s6, s6, s2
	s_mul_i32 s2, s15, s4
	s_addc_u32 s4, s7, s3
	s_add_i32 s3, s8, s5
	s_delay_alu instid0(VALU_DEP_1) | instskip(SKIP_1) | instid1(SALU_CYCLE_1)
	v_lshlrev_b64 v[4:5], 4, v[4:5]
	s_lshl_b64 s[2:3], s[2:3], 4
	s_add_u32 s0, s0, s2
	s_addc_u32 s1, s1, s3
	s_delay_alu instid0(VALU_DEP_1) | instskip(NEXT) | instid1(VALU_DEP_2)
	v_add_co_u32 v1, vcc_lo, s0, v4
	v_add_co_ci_u32_e32 v4, vcc_lo, s1, v5, vcc_lo
	s_delay_alu instid0(VALU_DEP_2) | instskip(NEXT) | instid1(VALU_DEP_2)
	v_add_co_u32 v3, vcc_lo, v1, v6
	v_add_co_ci_u32_e32 v4, vcc_lo, v4, v7, vcc_lo
	v_add_nc_u32_e32 v1, -1, v2
	global_load_b128 v[3:6], v[3:4], off
	v_mul_lo_u32 v1, v1, v2
	s_delay_alu instid0(VALU_DEP_1) | instskip(NEXT) | instid1(VALU_DEP_1)
	v_lshrrev_b32_e32 v2, 31, v1
	v_add_nc_u32_e32 v1, v1, v2
	s_delay_alu instid0(VALU_DEP_1) | instskip(NEXT) | instid1(VALU_DEP_1)
	v_ashrrev_i32_e32 v1, 1, v1
	v_add_nc_u32_e32 v0, v1, v0
	s_delay_alu instid0(VALU_DEP_1) | instskip(NEXT) | instid1(VALU_DEP_1)
	v_ashrrev_i32_e32 v1, 31, v0
	v_lshlrev_b64 v[0:1], 4, v[0:1]
	s_delay_alu instid0(VALU_DEP_1) | instskip(NEXT) | instid1(VALU_DEP_2)
	v_add_co_u32 v0, vcc_lo, s6, v0
	v_add_co_ci_u32_e32 v1, vcc_lo, s4, v1, vcc_lo
	s_waitcnt vmcnt(0)
	global_store_b128 v[0:1], v[3:6], off
.LBB36_2:
	s_nop 0
	s_sendmsg sendmsg(MSG_DEALLOC_VGPRS)
	s_endpgm
	.section	.rodata,"a",@progbits
	.p2align	6, 0x0
	.amdhsa_kernel _ZL40rocblas_copy_triangular_syrk_herk_kernelILb1ELb1ELb1E19rocblas_complex_numIdEPS1_Li16ELi16EEviT3_ilPT2_i
		.amdhsa_group_segment_fixed_size 0
		.amdhsa_private_segment_fixed_size 0
		.amdhsa_kernarg_size 304
		.amdhsa_user_sgpr_count 13
		.amdhsa_user_sgpr_dispatch_ptr 0
		.amdhsa_user_sgpr_queue_ptr 0
		.amdhsa_user_sgpr_kernarg_segment_ptr 1
		.amdhsa_user_sgpr_dispatch_id 0
		.amdhsa_user_sgpr_private_segment_size 0
		.amdhsa_wavefront_size32 1
		.amdhsa_uses_dynamic_stack 0
		.amdhsa_enable_private_segment 0
		.amdhsa_system_sgpr_workgroup_id_x 1
		.amdhsa_system_sgpr_workgroup_id_y 1
		.amdhsa_system_sgpr_workgroup_id_z 1
		.amdhsa_system_sgpr_workgroup_info 0
		.amdhsa_system_vgpr_workitem_id 1
		.amdhsa_next_free_vgpr 8
		.amdhsa_next_free_sgpr 16
		.amdhsa_reserve_vcc 1
		.amdhsa_float_round_mode_32 0
		.amdhsa_float_round_mode_16_64 0
		.amdhsa_float_denorm_mode_32 3
		.amdhsa_float_denorm_mode_16_64 3
		.amdhsa_dx10_clamp 1
		.amdhsa_ieee_mode 1
		.amdhsa_fp16_overflow 0
		.amdhsa_workgroup_processor_mode 1
		.amdhsa_memory_ordered 1
		.amdhsa_forward_progress 0
		.amdhsa_shared_vgpr_count 0
		.amdhsa_exception_fp_ieee_invalid_op 0
		.amdhsa_exception_fp_denorm_src 0
		.amdhsa_exception_fp_ieee_div_zero 0
		.amdhsa_exception_fp_ieee_overflow 0
		.amdhsa_exception_fp_ieee_underflow 0
		.amdhsa_exception_fp_ieee_inexact 0
		.amdhsa_exception_int_div_zero 0
	.end_amdhsa_kernel
	.section	.text._ZL40rocblas_copy_triangular_syrk_herk_kernelILb1ELb1ELb1E19rocblas_complex_numIdEPS1_Li16ELi16EEviT3_ilPT2_i,"axG",@progbits,_ZL40rocblas_copy_triangular_syrk_herk_kernelILb1ELb1ELb1E19rocblas_complex_numIdEPS1_Li16ELi16EEviT3_ilPT2_i,comdat
.Lfunc_end36:
	.size	_ZL40rocblas_copy_triangular_syrk_herk_kernelILb1ELb1ELb1E19rocblas_complex_numIdEPS1_Li16ELi16EEviT3_ilPT2_i, .Lfunc_end36-_ZL40rocblas_copy_triangular_syrk_herk_kernelILb1ELb1ELb1E19rocblas_complex_numIdEPS1_Li16ELi16EEviT3_ilPT2_i
                                        ; -- End function
	.section	.AMDGPU.csdata,"",@progbits
; Kernel info:
; codeLenInByte = 392
; NumSgprs: 18
; NumVgprs: 8
; ScratchSize: 0
; MemoryBound: 0
; FloatMode: 240
; IeeeMode: 1
; LDSByteSize: 0 bytes/workgroup (compile time only)
; SGPRBlocks: 2
; VGPRBlocks: 0
; NumSGPRsForWavesPerEU: 18
; NumVGPRsForWavesPerEU: 8
; Occupancy: 16
; WaveLimiterHint : 0
; COMPUTE_PGM_RSRC2:SCRATCH_EN: 0
; COMPUTE_PGM_RSRC2:USER_SGPR: 13
; COMPUTE_PGM_RSRC2:TRAP_HANDLER: 0
; COMPUTE_PGM_RSRC2:TGID_X_EN: 1
; COMPUTE_PGM_RSRC2:TGID_Y_EN: 1
; COMPUTE_PGM_RSRC2:TGID_Z_EN: 1
; COMPUTE_PGM_RSRC2:TIDIG_COMP_CNT: 1
	.section	.text._ZL40rocblas_copy_triangular_syrk_herk_kernelILb1ELb0ELb1E19rocblas_complex_numIdEPS1_Li16ELi16EEviT3_ilPT2_i,"axG",@progbits,_ZL40rocblas_copy_triangular_syrk_herk_kernelILb1ELb0ELb1E19rocblas_complex_numIdEPS1_Li16ELi16EEviT3_ilPT2_i,comdat
	.globl	_ZL40rocblas_copy_triangular_syrk_herk_kernelILb1ELb0ELb1E19rocblas_complex_numIdEPS1_Li16ELi16EEviT3_ilPT2_i ; -- Begin function _ZL40rocblas_copy_triangular_syrk_herk_kernelILb1ELb0ELb1E19rocblas_complex_numIdEPS1_Li16ELi16EEviT3_ilPT2_i
	.p2align	8
	.type	_ZL40rocblas_copy_triangular_syrk_herk_kernelILb1ELb0ELb1E19rocblas_complex_numIdEPS1_Li16ELi16EEviT3_ilPT2_i,@function
_ZL40rocblas_copy_triangular_syrk_herk_kernelILb1ELb0ELb1E19rocblas_complex_numIdEPS1_Li16ELi16EEviT3_ilPT2_i: ; @_ZL40rocblas_copy_triangular_syrk_herk_kernelILb1ELb0ELb1E19rocblas_complex_numIdEPS1_Li16ELi16EEviT3_ilPT2_i
; %bb.0:
	s_clause 0x1
	s_load_b32 s2, s[0:1], 0x3c
	s_load_b32 s3, s[0:1], 0x0
	v_bfe_u32 v1, v0, 10, 10
	v_and_b32_e32 v4, 0x3ff, v0
	s_waitcnt lgkmcnt(0)
	s_lshr_b32 s4, s2, 16
	s_and_b32 s2, s2, 0xffff
	v_mad_u64_u32 v[2:3], null, s14, s4, v[1:2]
	v_mad_u64_u32 v[0:1], null, s13, s2, v[4:5]
	s_delay_alu instid0(VALU_DEP_1) | instskip(SKIP_1) | instid1(VALU_DEP_2)
	v_max_i32_e32 v1, v2, v0
	v_cmp_lt_i32_e64 s2, v2, v0
	v_cmp_gt_i32_e32 vcc_lo, s3, v1
	s_delay_alu instid0(VALU_DEP_2) | instskip(NEXT) | instid1(SALU_CYCLE_1)
	s_and_b32 s2, s2, vcc_lo
	s_and_saveexec_b32 s4, s2
	s_cbranch_execz .LBB37_2
; %bb.1:
	s_clause 0x1
	s_load_b32 s2, s[0:1], 0x10
	s_load_b128 s[4:7], s[0:1], 0x18
	s_add_i32 s8, s3, -1
	s_load_b64 s[0:1], s[0:1], 0x8
	s_mul_hi_i32 s9, s8, s3
	s_mul_i32 s8, s8, s3
	s_lshr_b32 s10, s9, 31
	v_ashrrev_i32_e32 v3, 31, v2
	s_add_u32 s8, s8, s10
	s_addc_u32 s9, s9, 0
	s_delay_alu instid0(SALU_CYCLE_1) | instskip(NEXT) | instid1(VALU_DEP_1)
	s_ashr_i64 s[8:9], s[8:9], 1
	v_lshlrev_b64 v[6:7], 4, v[2:3]
	s_mul_i32 s9, s9, s15
	s_mul_hi_u32 s10, s8, s15
	s_mul_i32 s8, s8, s15
	s_add_i32 s9, s10, s9
	s_delay_alu instid0(SALU_CYCLE_1)
	s_lshl_b64 s[8:9], s[8:9], 4
	s_waitcnt lgkmcnt(0)
	v_mad_i64_i32 v[4:5], null, v0, s2, 0
	s_add_u32 s2, s6, s8
	s_mul_i32 s5, s15, s5
	s_mul_hi_u32 s6, s15, s4
	s_mul_i32 s4, s15, s4
	s_addc_u32 s7, s7, s9
	s_add_i32 s5, s6, s5
	s_delay_alu instid0(VALU_DEP_1) | instskip(SKIP_1) | instid1(SALU_CYCLE_1)
	v_lshlrev_b64 v[4:5], 4, v[4:5]
	s_lshl_b64 s[4:5], s[4:5], 4
	s_add_u32 s0, s0, s4
	s_addc_u32 s1, s1, s5
	s_delay_alu instid0(VALU_DEP_1) | instskip(NEXT) | instid1(VALU_DEP_2)
	v_add_co_u32 v1, vcc_lo, s0, v4
	v_add_co_ci_u32_e32 v4, vcc_lo, s1, v5, vcc_lo
	s_delay_alu instid0(VALU_DEP_2) | instskip(NEXT) | instid1(VALU_DEP_2)
	v_add_co_u32 v3, vcc_lo, v1, v6
	v_add_co_ci_u32_e32 v4, vcc_lo, v4, v7, vcc_lo
	v_not_b32_e32 v1, v2
	global_load_b128 v[3:6], v[3:4], off
	v_lshl_add_u32 v7, s3, 1, v1
	s_delay_alu instid0(VALU_DEP_1) | instskip(NEXT) | instid1(VALU_DEP_1)
	v_mul_lo_u32 v2, v7, v2
	v_lshrrev_b32_e32 v7, 31, v2
	s_delay_alu instid0(VALU_DEP_1) | instskip(NEXT) | instid1(VALU_DEP_1)
	v_add_nc_u32_e32 v2, v2, v7
	v_ashrrev_i32_e32 v2, 1, v2
	s_delay_alu instid0(VALU_DEP_1) | instskip(NEXT) | instid1(VALU_DEP_1)
	v_add3_u32 v0, v0, v1, v2
	v_ashrrev_i32_e32 v1, 31, v0
	s_delay_alu instid0(VALU_DEP_1) | instskip(NEXT) | instid1(VALU_DEP_1)
	v_lshlrev_b64 v[0:1], 4, v[0:1]
	v_add_co_u32 v0, vcc_lo, s2, v0
	s_delay_alu instid0(VALU_DEP_2)
	v_add_co_ci_u32_e32 v1, vcc_lo, s7, v1, vcc_lo
	s_waitcnt vmcnt(0)
	global_store_b128 v[0:1], v[3:6], off
.LBB37_2:
	s_nop 0
	s_sendmsg sendmsg(MSG_DEALLOC_VGPRS)
	s_endpgm
	.section	.rodata,"a",@progbits
	.p2align	6, 0x0
	.amdhsa_kernel _ZL40rocblas_copy_triangular_syrk_herk_kernelILb1ELb0ELb1E19rocblas_complex_numIdEPS1_Li16ELi16EEviT3_ilPT2_i
		.amdhsa_group_segment_fixed_size 0
		.amdhsa_private_segment_fixed_size 0
		.amdhsa_kernarg_size 304
		.amdhsa_user_sgpr_count 13
		.amdhsa_user_sgpr_dispatch_ptr 0
		.amdhsa_user_sgpr_queue_ptr 0
		.amdhsa_user_sgpr_kernarg_segment_ptr 1
		.amdhsa_user_sgpr_dispatch_id 0
		.amdhsa_user_sgpr_private_segment_size 0
		.amdhsa_wavefront_size32 1
		.amdhsa_uses_dynamic_stack 0
		.amdhsa_enable_private_segment 0
		.amdhsa_system_sgpr_workgroup_id_x 1
		.amdhsa_system_sgpr_workgroup_id_y 1
		.amdhsa_system_sgpr_workgroup_id_z 1
		.amdhsa_system_sgpr_workgroup_info 0
		.amdhsa_system_vgpr_workitem_id 1
		.amdhsa_next_free_vgpr 8
		.amdhsa_next_free_sgpr 16
		.amdhsa_reserve_vcc 1
		.amdhsa_float_round_mode_32 0
		.amdhsa_float_round_mode_16_64 0
		.amdhsa_float_denorm_mode_32 3
		.amdhsa_float_denorm_mode_16_64 3
		.amdhsa_dx10_clamp 1
		.amdhsa_ieee_mode 1
		.amdhsa_fp16_overflow 0
		.amdhsa_workgroup_processor_mode 1
		.amdhsa_memory_ordered 1
		.amdhsa_forward_progress 0
		.amdhsa_shared_vgpr_count 0
		.amdhsa_exception_fp_ieee_invalid_op 0
		.amdhsa_exception_fp_denorm_src 0
		.amdhsa_exception_fp_ieee_div_zero 0
		.amdhsa_exception_fp_ieee_overflow 0
		.amdhsa_exception_fp_ieee_underflow 0
		.amdhsa_exception_fp_ieee_inexact 0
		.amdhsa_exception_int_div_zero 0
	.end_amdhsa_kernel
	.section	.text._ZL40rocblas_copy_triangular_syrk_herk_kernelILb1ELb0ELb1E19rocblas_complex_numIdEPS1_Li16ELi16EEviT3_ilPT2_i,"axG",@progbits,_ZL40rocblas_copy_triangular_syrk_herk_kernelILb1ELb0ELb1E19rocblas_complex_numIdEPS1_Li16ELi16EEviT3_ilPT2_i,comdat
.Lfunc_end37:
	.size	_ZL40rocblas_copy_triangular_syrk_herk_kernelILb1ELb0ELb1E19rocblas_complex_numIdEPS1_Li16ELi16EEviT3_ilPT2_i, .Lfunc_end37-_ZL40rocblas_copy_triangular_syrk_herk_kernelILb1ELb0ELb1E19rocblas_complex_numIdEPS1_Li16ELi16EEviT3_ilPT2_i
                                        ; -- End function
	.section	.AMDGPU.csdata,"",@progbits
; Kernel info:
; codeLenInByte = 408
; NumSgprs: 18
; NumVgprs: 8
; ScratchSize: 0
; MemoryBound: 0
; FloatMode: 240
; IeeeMode: 1
; LDSByteSize: 0 bytes/workgroup (compile time only)
; SGPRBlocks: 2
; VGPRBlocks: 0
; NumSGPRsForWavesPerEU: 18
; NumVGPRsForWavesPerEU: 8
; Occupancy: 16
; WaveLimiterHint : 0
; COMPUTE_PGM_RSRC2:SCRATCH_EN: 0
; COMPUTE_PGM_RSRC2:USER_SGPR: 13
; COMPUTE_PGM_RSRC2:TRAP_HANDLER: 0
; COMPUTE_PGM_RSRC2:TGID_X_EN: 1
; COMPUTE_PGM_RSRC2:TGID_Y_EN: 1
; COMPUTE_PGM_RSRC2:TGID_Z_EN: 1
; COMPUTE_PGM_RSRC2:TIDIG_COMP_CNT: 1
	.section	.text._ZL40rocblas_copy_triangular_syrk_herk_kernelILb0ELb1ELb1E19rocblas_complex_numIdEPS1_Li16ELi16EEviT3_ilPT2_i,"axG",@progbits,_ZL40rocblas_copy_triangular_syrk_herk_kernelILb0ELb1ELb1E19rocblas_complex_numIdEPS1_Li16ELi16EEviT3_ilPT2_i,comdat
	.globl	_ZL40rocblas_copy_triangular_syrk_herk_kernelILb0ELb1ELb1E19rocblas_complex_numIdEPS1_Li16ELi16EEviT3_ilPT2_i ; -- Begin function _ZL40rocblas_copy_triangular_syrk_herk_kernelILb0ELb1ELb1E19rocblas_complex_numIdEPS1_Li16ELi16EEviT3_ilPT2_i
	.p2align	8
	.type	_ZL40rocblas_copy_triangular_syrk_herk_kernelILb0ELb1ELb1E19rocblas_complex_numIdEPS1_Li16ELi16EEviT3_ilPT2_i,@function
_ZL40rocblas_copy_triangular_syrk_herk_kernelILb0ELb1ELb1E19rocblas_complex_numIdEPS1_Li16ELi16EEviT3_ilPT2_i: ; @_ZL40rocblas_copy_triangular_syrk_herk_kernelILb0ELb1ELb1E19rocblas_complex_numIdEPS1_Li16ELi16EEviT3_ilPT2_i
; %bb.0:
	s_clause 0x4
	s_load_b128 s[4:7], s[0:1], 0x18
	s_load_b64 s[10:11], s[0:1], 0x8
	s_load_b32 s9, s[0:1], 0x3c
	s_load_b32 s8, s[0:1], 0x0
	;; [unrolled: 1-line block ×3, first 2 shown]
	v_bfe_u32 v2, v0, 10, 10
	v_and_b32_e32 v4, 0x3ff, v0
	s_waitcnt lgkmcnt(0)
	s_mul_i32 s1, s15, s5
	s_mul_hi_u32 s3, s15, s4
	s_mul_i32 s0, s15, s4
	s_add_i32 s1, s3, s1
	s_delay_alu instid0(SALU_CYCLE_1) | instskip(NEXT) | instid1(SALU_CYCLE_1)
	s_lshl_b64 s[0:1], s[0:1], 4
	s_add_u32 s3, s10, s0
	s_addc_u32 s4, s11, s1
	s_lshr_b32 s0, s9, 16
	s_and_b32 s1, s9, 0xffff
	v_mad_u64_u32 v[0:1], null, s14, s0, v[2:3]
	v_mad_u64_u32 v[2:3], null, s13, s1, v[4:5]
	s_delay_alu instid0(VALU_DEP_2) | instskip(SKIP_1) | instid1(VALU_DEP_3)
	v_cmp_gt_i32_e32 vcc_lo, s8, v0
	v_ashrrev_i32_e32 v1, 31, v0
	v_cmp_gt_i32_e64 s0, s8, v2
	v_cmp_gt_i32_e64 s1, v0, v2
	s_delay_alu instid0(VALU_DEP_2)
	s_and_b32 s0, s0, vcc_lo
	s_delay_alu instid0(VALU_DEP_1) | instid1(SALU_CYCLE_1)
	s_and_b32 s0, s0, s1
	s_delay_alu instid0(SALU_CYCLE_1)
	s_and_saveexec_b32 s1, s0
	s_cbranch_execz .LBB38_2
; %bb.1:
	v_add_nc_u32_e32 v3, -1, v0
	s_add_i32 s0, s8, -1
	v_mad_i64_i32 v[7:8], null, v2, s2, 0
	s_mul_hi_i32 s5, s0, s8
	s_delay_alu instid0(VALU_DEP_2)
	v_mul_lo_u32 v3, v3, v0
	s_mul_i32 s0, s0, s8
	s_lshr_b32 s8, s5, 31
	v_lshlrev_b64 v[9:10], 4, v[0:1]
	s_add_u32 s8, s0, s8
	s_addc_u32 s9, s5, 0
	v_lshlrev_b64 v[7:8], 4, v[7:8]
	s_ashr_i64 s[8:9], s[8:9], 1
	v_lshrrev_b32_e32 v4, 31, v3
	s_mul_i32 s0, s9, s15
	s_mul_hi_u32 s5, s8, s15
	s_mul_i32 s8, s8, s15
	s_add_i32 s9, s5, s0
	v_add_nc_u32_e32 v3, v3, v4
	s_lshl_b64 s[8:9], s[8:9], 4
	s_delay_alu instid0(SALU_CYCLE_1) | instskip(SKIP_1) | instid1(VALU_DEP_1)
	s_add_u32 s0, s6, s8
	s_addc_u32 s5, s7, s9
	v_ashrrev_i32_e32 v3, 1, v3
	s_delay_alu instid0(VALU_DEP_1) | instskip(NEXT) | instid1(VALU_DEP_1)
	v_add_nc_u32_e32 v3, v3, v2
	v_ashrrev_i32_e32 v4, 31, v3
	s_delay_alu instid0(VALU_DEP_1) | instskip(NEXT) | instid1(VALU_DEP_1)
	v_lshlrev_b64 v[3:4], 4, v[3:4]
	v_add_co_u32 v3, s0, s0, v3
	s_delay_alu instid0(VALU_DEP_1) | instskip(SKIP_1) | instid1(VALU_DEP_1)
	v_add_co_ci_u32_e64 v4, s0, s5, v4, s0
	v_add_co_u32 v7, s0, s3, v7
	v_add_co_ci_u32_e64 v8, s0, s4, v8, s0
	global_load_b128 v[3:6], v[3:4], off
	v_add_co_u32 v7, s0, v7, v9
	s_delay_alu instid0(VALU_DEP_1)
	v_add_co_ci_u32_e64 v8, s0, v8, v10, s0
	s_waitcnt vmcnt(0)
	global_store_b128 v[7:8], v[3:6], off
.LBB38_2:
	s_or_b32 exec_lo, exec_lo, s1
	v_cmp_eq_u32_e64 s0, v0, v2
	s_delay_alu instid0(VALU_DEP_1) | instskip(NEXT) | instid1(SALU_CYCLE_1)
	s_and_b32 s0, vcc_lo, s0
	s_and_saveexec_b32 s1, s0
	s_cbranch_execz .LBB38_4
; %bb.3:
	v_mad_i64_i32 v[2:3], null, v0, s2, v[0:1]
	s_delay_alu instid0(VALU_DEP_1) | instskip(SKIP_1) | instid1(VALU_DEP_1)
	v_lshlrev_b64 v[0:1], 4, v[2:3]
	v_mov_b32_e32 v2, 0
	v_mov_b32_e32 v3, v2
	s_delay_alu instid0(VALU_DEP_3) | instskip(NEXT) | instid1(VALU_DEP_4)
	v_add_co_u32 v0, vcc_lo, s3, v0
	v_add_co_ci_u32_e32 v1, vcc_lo, s4, v1, vcc_lo
	global_store_b64 v[0:1], v[2:3], off offset:8
.LBB38_4:
	s_nop 0
	s_sendmsg sendmsg(MSG_DEALLOC_VGPRS)
	s_endpgm
	.section	.rodata,"a",@progbits
	.p2align	6, 0x0
	.amdhsa_kernel _ZL40rocblas_copy_triangular_syrk_herk_kernelILb0ELb1ELb1E19rocblas_complex_numIdEPS1_Li16ELi16EEviT3_ilPT2_i
		.amdhsa_group_segment_fixed_size 0
		.amdhsa_private_segment_fixed_size 0
		.amdhsa_kernarg_size 304
		.amdhsa_user_sgpr_count 13
		.amdhsa_user_sgpr_dispatch_ptr 0
		.amdhsa_user_sgpr_queue_ptr 0
		.amdhsa_user_sgpr_kernarg_segment_ptr 1
		.amdhsa_user_sgpr_dispatch_id 0
		.amdhsa_user_sgpr_private_segment_size 0
		.amdhsa_wavefront_size32 1
		.amdhsa_uses_dynamic_stack 0
		.amdhsa_enable_private_segment 0
		.amdhsa_system_sgpr_workgroup_id_x 1
		.amdhsa_system_sgpr_workgroup_id_y 1
		.amdhsa_system_sgpr_workgroup_id_z 1
		.amdhsa_system_sgpr_workgroup_info 0
		.amdhsa_system_vgpr_workitem_id 1
		.amdhsa_next_free_vgpr 11
		.amdhsa_next_free_sgpr 16
		.amdhsa_reserve_vcc 1
		.amdhsa_float_round_mode_32 0
		.amdhsa_float_round_mode_16_64 0
		.amdhsa_float_denorm_mode_32 3
		.amdhsa_float_denorm_mode_16_64 3
		.amdhsa_dx10_clamp 1
		.amdhsa_ieee_mode 1
		.amdhsa_fp16_overflow 0
		.amdhsa_workgroup_processor_mode 1
		.amdhsa_memory_ordered 1
		.amdhsa_forward_progress 0
		.amdhsa_shared_vgpr_count 0
		.amdhsa_exception_fp_ieee_invalid_op 0
		.amdhsa_exception_fp_denorm_src 0
		.amdhsa_exception_fp_ieee_div_zero 0
		.amdhsa_exception_fp_ieee_overflow 0
		.amdhsa_exception_fp_ieee_underflow 0
		.amdhsa_exception_fp_ieee_inexact 0
		.amdhsa_exception_int_div_zero 0
	.end_amdhsa_kernel
	.section	.text._ZL40rocblas_copy_triangular_syrk_herk_kernelILb0ELb1ELb1E19rocblas_complex_numIdEPS1_Li16ELi16EEviT3_ilPT2_i,"axG",@progbits,_ZL40rocblas_copy_triangular_syrk_herk_kernelILb0ELb1ELb1E19rocblas_complex_numIdEPS1_Li16ELi16EEviT3_ilPT2_i,comdat
.Lfunc_end38:
	.size	_ZL40rocblas_copy_triangular_syrk_herk_kernelILb0ELb1ELb1E19rocblas_complex_numIdEPS1_Li16ELi16EEviT3_ilPT2_i, .Lfunc_end38-_ZL40rocblas_copy_triangular_syrk_herk_kernelILb0ELb1ELb1E19rocblas_complex_numIdEPS1_Li16ELi16EEviT3_ilPT2_i
                                        ; -- End function
	.section	.AMDGPU.csdata,"",@progbits
; Kernel info:
; codeLenInByte = 484
; NumSgprs: 18
; NumVgprs: 11
; ScratchSize: 0
; MemoryBound: 0
; FloatMode: 240
; IeeeMode: 1
; LDSByteSize: 0 bytes/workgroup (compile time only)
; SGPRBlocks: 2
; VGPRBlocks: 1
; NumSGPRsForWavesPerEU: 18
; NumVGPRsForWavesPerEU: 11
; Occupancy: 16
; WaveLimiterHint : 0
; COMPUTE_PGM_RSRC2:SCRATCH_EN: 0
; COMPUTE_PGM_RSRC2:USER_SGPR: 13
; COMPUTE_PGM_RSRC2:TRAP_HANDLER: 0
; COMPUTE_PGM_RSRC2:TGID_X_EN: 1
; COMPUTE_PGM_RSRC2:TGID_Y_EN: 1
; COMPUTE_PGM_RSRC2:TGID_Z_EN: 1
; COMPUTE_PGM_RSRC2:TIDIG_COMP_CNT: 1
	.section	.text._ZL40rocblas_copy_triangular_syrk_herk_kernelILb0ELb0ELb1E19rocblas_complex_numIdEPS1_Li16ELi16EEviT3_ilPT2_i,"axG",@progbits,_ZL40rocblas_copy_triangular_syrk_herk_kernelILb0ELb0ELb1E19rocblas_complex_numIdEPS1_Li16ELi16EEviT3_ilPT2_i,comdat
	.globl	_ZL40rocblas_copy_triangular_syrk_herk_kernelILb0ELb0ELb1E19rocblas_complex_numIdEPS1_Li16ELi16EEviT3_ilPT2_i ; -- Begin function _ZL40rocblas_copy_triangular_syrk_herk_kernelILb0ELb0ELb1E19rocblas_complex_numIdEPS1_Li16ELi16EEviT3_ilPT2_i
	.p2align	8
	.type	_ZL40rocblas_copy_triangular_syrk_herk_kernelILb0ELb0ELb1E19rocblas_complex_numIdEPS1_Li16ELi16EEviT3_ilPT2_i,@function
_ZL40rocblas_copy_triangular_syrk_herk_kernelILb0ELb0ELb1E19rocblas_complex_numIdEPS1_Li16ELi16EEviT3_ilPT2_i: ; @_ZL40rocblas_copy_triangular_syrk_herk_kernelILb0ELb0ELb1E19rocblas_complex_numIdEPS1_Li16ELi16EEviT3_ilPT2_i
; %bb.0:
	s_clause 0x4
	s_load_b128 s[4:7], s[0:1], 0x18
	s_load_b64 s[10:11], s[0:1], 0x8
	s_load_b32 s9, s[0:1], 0x3c
	s_load_b32 s8, s[0:1], 0x0
	;; [unrolled: 1-line block ×3, first 2 shown]
	v_bfe_u32 v4, v0, 10, 10
	v_and_b32_e32 v0, 0x3ff, v0
	s_waitcnt lgkmcnt(0)
	s_mul_i32 s1, s15, s5
	s_mul_hi_u32 s3, s15, s4
	s_mul_i32 s0, s15, s4
	s_add_i32 s1, s3, s1
	s_delay_alu instid0(SALU_CYCLE_1) | instskip(NEXT) | instid1(SALU_CYCLE_1)
	s_lshl_b64 s[0:1], s[0:1], 4
	s_add_u32 s3, s10, s0
	s_addc_u32 s4, s11, s1
	s_lshr_b32 s0, s9, 16
	s_and_b32 s1, s9, 0xffff
	s_delay_alu instid0(SALU_CYCLE_1) | instskip(SKIP_1) | instid1(VALU_DEP_2)
	v_mad_u64_u32 v[2:3], null, s13, s1, v[0:1]
	v_mad_u64_u32 v[0:1], null, s14, s0, v[4:5]
	v_cmp_gt_i32_e64 s0, s8, v2
	s_delay_alu instid0(VALU_DEP_2) | instskip(SKIP_2) | instid1(VALU_DEP_3)
	v_cmp_lt_i32_e64 s1, v0, v2
	v_cmp_gt_i32_e32 vcc_lo, s8, v0
	v_ashrrev_i32_e32 v1, 31, v0
	s_and_b32 s0, s0, s1
	s_delay_alu instid0(SALU_CYCLE_1) | instskip(NEXT) | instid1(SALU_CYCLE_1)
	s_and_b32 s0, vcc_lo, s0
	s_and_saveexec_b32 s1, s0
	s_cbranch_execz .LBB39_2
; %bb.1:
	v_not_b32_e32 v3, v0
	s_add_i32 s0, s8, -1
	v_mad_i64_i32 v[7:8], null, v2, s2, 0
	s_mul_hi_i32 s5, s0, s8
	s_delay_alu instid0(VALU_DEP_2)
	v_lshl_add_u32 v4, s8, 1, v3
	s_mul_i32 s0, s0, s8
	s_lshr_b32 s8, s5, 31
	v_lshlrev_b64 v[9:10], 4, v[0:1]
	s_add_u32 s8, s0, s8
	v_mul_lo_u32 v4, v4, v0
	s_addc_u32 s9, s5, 0
	v_lshlrev_b64 v[7:8], 4, v[7:8]
	s_ashr_i64 s[8:9], s[8:9], 1
	s_delay_alu instid0(SALU_CYCLE_1) | instskip(SKIP_2) | instid1(VALU_DEP_2)
	s_mul_i32 s0, s9, s15
	s_mul_hi_u32 s5, s8, s15
	s_mul_i32 s8, s8, s15
	v_lshrrev_b32_e32 v5, 31, v4
	s_add_i32 s9, s5, s0
	s_delay_alu instid0(SALU_CYCLE_1) | instskip(NEXT) | instid1(SALU_CYCLE_1)
	s_lshl_b64 s[8:9], s[8:9], 4
	s_add_u32 s0, s6, s8
	s_delay_alu instid0(VALU_DEP_1) | instskip(SKIP_1) | instid1(VALU_DEP_1)
	v_add_nc_u32_e32 v4, v4, v5
	s_addc_u32 s5, s7, s9
	v_ashrrev_i32_e32 v4, 1, v4
	s_delay_alu instid0(VALU_DEP_1) | instskip(NEXT) | instid1(VALU_DEP_1)
	v_add3_u32 v3, v2, v3, v4
	v_ashrrev_i32_e32 v4, 31, v3
	s_delay_alu instid0(VALU_DEP_1) | instskip(NEXT) | instid1(VALU_DEP_1)
	v_lshlrev_b64 v[3:4], 4, v[3:4]
	v_add_co_u32 v3, s0, s0, v3
	s_delay_alu instid0(VALU_DEP_1) | instskip(SKIP_1) | instid1(VALU_DEP_1)
	v_add_co_ci_u32_e64 v4, s0, s5, v4, s0
	v_add_co_u32 v7, s0, s3, v7
	v_add_co_ci_u32_e64 v8, s0, s4, v8, s0
	global_load_b128 v[3:6], v[3:4], off
	v_add_co_u32 v7, s0, v7, v9
	s_delay_alu instid0(VALU_DEP_1)
	v_add_co_ci_u32_e64 v8, s0, v8, v10, s0
	s_waitcnt vmcnt(0)
	global_store_b128 v[7:8], v[3:6], off
.LBB39_2:
	s_or_b32 exec_lo, exec_lo, s1
	v_cmp_eq_u32_e64 s0, v0, v2
	s_delay_alu instid0(VALU_DEP_1) | instskip(NEXT) | instid1(SALU_CYCLE_1)
	s_and_b32 s0, vcc_lo, s0
	s_and_saveexec_b32 s1, s0
	s_cbranch_execz .LBB39_4
; %bb.3:
	v_mad_i64_i32 v[2:3], null, v0, s2, v[0:1]
	s_delay_alu instid0(VALU_DEP_1) | instskip(SKIP_1) | instid1(VALU_DEP_1)
	v_lshlrev_b64 v[0:1], 4, v[2:3]
	v_mov_b32_e32 v2, 0
	v_mov_b32_e32 v3, v2
	s_delay_alu instid0(VALU_DEP_3) | instskip(NEXT) | instid1(VALU_DEP_4)
	v_add_co_u32 v0, vcc_lo, s3, v0
	v_add_co_ci_u32_e32 v1, vcc_lo, s4, v1, vcc_lo
	global_store_b64 v[0:1], v[2:3], off offset:8
.LBB39_4:
	s_nop 0
	s_sendmsg sendmsg(MSG_DEALLOC_VGPRS)
	s_endpgm
	.section	.rodata,"a",@progbits
	.p2align	6, 0x0
	.amdhsa_kernel _ZL40rocblas_copy_triangular_syrk_herk_kernelILb0ELb0ELb1E19rocblas_complex_numIdEPS1_Li16ELi16EEviT3_ilPT2_i
		.amdhsa_group_segment_fixed_size 0
		.amdhsa_private_segment_fixed_size 0
		.amdhsa_kernarg_size 304
		.amdhsa_user_sgpr_count 13
		.amdhsa_user_sgpr_dispatch_ptr 0
		.amdhsa_user_sgpr_queue_ptr 0
		.amdhsa_user_sgpr_kernarg_segment_ptr 1
		.amdhsa_user_sgpr_dispatch_id 0
		.amdhsa_user_sgpr_private_segment_size 0
		.amdhsa_wavefront_size32 1
		.amdhsa_uses_dynamic_stack 0
		.amdhsa_enable_private_segment 0
		.amdhsa_system_sgpr_workgroup_id_x 1
		.amdhsa_system_sgpr_workgroup_id_y 1
		.amdhsa_system_sgpr_workgroup_id_z 1
		.amdhsa_system_sgpr_workgroup_info 0
		.amdhsa_system_vgpr_workitem_id 1
		.amdhsa_next_free_vgpr 11
		.amdhsa_next_free_sgpr 16
		.amdhsa_reserve_vcc 1
		.amdhsa_float_round_mode_32 0
		.amdhsa_float_round_mode_16_64 0
		.amdhsa_float_denorm_mode_32 3
		.amdhsa_float_denorm_mode_16_64 3
		.amdhsa_dx10_clamp 1
		.amdhsa_ieee_mode 1
		.amdhsa_fp16_overflow 0
		.amdhsa_workgroup_processor_mode 1
		.amdhsa_memory_ordered 1
		.amdhsa_forward_progress 0
		.amdhsa_shared_vgpr_count 0
		.amdhsa_exception_fp_ieee_invalid_op 0
		.amdhsa_exception_fp_denorm_src 0
		.amdhsa_exception_fp_ieee_div_zero 0
		.amdhsa_exception_fp_ieee_overflow 0
		.amdhsa_exception_fp_ieee_underflow 0
		.amdhsa_exception_fp_ieee_inexact 0
		.amdhsa_exception_int_div_zero 0
	.end_amdhsa_kernel
	.section	.text._ZL40rocblas_copy_triangular_syrk_herk_kernelILb0ELb0ELb1E19rocblas_complex_numIdEPS1_Li16ELi16EEviT3_ilPT2_i,"axG",@progbits,_ZL40rocblas_copy_triangular_syrk_herk_kernelILb0ELb0ELb1E19rocblas_complex_numIdEPS1_Li16ELi16EEviT3_ilPT2_i,comdat
.Lfunc_end39:
	.size	_ZL40rocblas_copy_triangular_syrk_herk_kernelILb0ELb0ELb1E19rocblas_complex_numIdEPS1_Li16ELi16EEviT3_ilPT2_i, .Lfunc_end39-_ZL40rocblas_copy_triangular_syrk_herk_kernelILb0ELb0ELb1E19rocblas_complex_numIdEPS1_Li16ELi16EEviT3_ilPT2_i
                                        ; -- End function
	.section	.AMDGPU.csdata,"",@progbits
; Kernel info:
; codeLenInByte = 500
; NumSgprs: 18
; NumVgprs: 11
; ScratchSize: 0
; MemoryBound: 0
; FloatMode: 240
; IeeeMode: 1
; LDSByteSize: 0 bytes/workgroup (compile time only)
; SGPRBlocks: 2
; VGPRBlocks: 1
; NumSGPRsForWavesPerEU: 18
; NumVGPRsForWavesPerEU: 11
; Occupancy: 16
; WaveLimiterHint : 0
; COMPUTE_PGM_RSRC2:SCRATCH_EN: 0
; COMPUTE_PGM_RSRC2:USER_SGPR: 13
; COMPUTE_PGM_RSRC2:TRAP_HANDLER: 0
; COMPUTE_PGM_RSRC2:TGID_X_EN: 1
; COMPUTE_PGM_RSRC2:TGID_Y_EN: 1
; COMPUTE_PGM_RSRC2:TGID_Z_EN: 1
; COMPUTE_PGM_RSRC2:TIDIG_COMP_CNT: 1
	.section	.text._ZL40rocblas_copy_triangular_syrk_herk_kernelILb1ELb1ELb1E19rocblas_complex_numIfEPKPS1_Li16ELi16EEviT3_ilPT2_i,"axG",@progbits,_ZL40rocblas_copy_triangular_syrk_herk_kernelILb1ELb1ELb1E19rocblas_complex_numIfEPKPS1_Li16ELi16EEviT3_ilPT2_i,comdat
	.globl	_ZL40rocblas_copy_triangular_syrk_herk_kernelILb1ELb1ELb1E19rocblas_complex_numIfEPKPS1_Li16ELi16EEviT3_ilPT2_i ; -- Begin function _ZL40rocblas_copy_triangular_syrk_herk_kernelILb1ELb1ELb1E19rocblas_complex_numIfEPKPS1_Li16ELi16EEviT3_ilPT2_i
	.p2align	8
	.type	_ZL40rocblas_copy_triangular_syrk_herk_kernelILb1ELb1ELb1E19rocblas_complex_numIfEPKPS1_Li16ELi16EEviT3_ilPT2_i,@function
_ZL40rocblas_copy_triangular_syrk_herk_kernelILb1ELb1ELb1E19rocblas_complex_numIfEPKPS1_Li16ELi16EEviT3_ilPT2_i: ; @_ZL40rocblas_copy_triangular_syrk_herk_kernelILb1ELb1ELb1E19rocblas_complex_numIfEPKPS1_Li16ELi16EEviT3_ilPT2_i
; %bb.0:
	s_clause 0x1
	s_load_b32 s2, s[0:1], 0x3c
	s_load_b32 s3, s[0:1], 0x0
	v_bfe_u32 v1, v0, 10, 10
	v_and_b32_e32 v4, 0x3ff, v0
	s_waitcnt lgkmcnt(0)
	s_lshr_b32 s5, s2, 16
	s_and_b32 s2, s2, 0xffff
	v_mad_u64_u32 v[2:3], null, s14, s5, v[1:2]
	v_mad_u64_u32 v[0:1], null, s13, s2, v[4:5]
	s_delay_alu instid0(VALU_DEP_1) | instskip(SKIP_1) | instid1(VALU_DEP_2)
	v_max_i32_e32 v1, v2, v0
	v_cmp_gt_i32_e64 s2, v2, v0
	v_cmp_gt_i32_e32 vcc_lo, s3, v1
	s_delay_alu instid0(VALU_DEP_2) | instskip(NEXT) | instid1(SALU_CYCLE_1)
	s_and_b32 s2, s2, vcc_lo
	s_and_saveexec_b32 s5, s2
	s_cbranch_execz .LBB40_2
; %bb.1:
	s_clause 0x1
	s_load_b64 s[6:7], s[0:1], 0x20
	s_load_b32 s10, s[0:1], 0x10
	s_add_i32 s2, s3, -1
	s_load_b64 s[8:9], s[0:1], 0x8
	s_mul_hi_i32 s5, s2, s3
	s_mul_i32 s2, s2, s3
	s_lshr_b32 s3, s5, 31
	s_mov_b32 s4, s15
	s_add_u32 s2, s2, s3
	s_addc_u32 s3, s5, 0
	s_mov_b32 s5, 0
	s_ashr_i64 s[2:3], s[2:3], 1
	v_ashrrev_i32_e32 v3, 31, v2
	s_mul_i32 s1, s3, s15
	s_mul_hi_u32 s3, s2, s15
	s_mul_i32 s0, s2, s15
	s_add_i32 s1, s3, s1
	v_lshlrev_b64 v[6:7], 3, v[2:3]
	s_lshl_b64 s[0:1], s[0:1], 3
	s_waitcnt lgkmcnt(0)
	s_add_u32 s2, s6, s0
	s_addc_u32 s3, s7, s1
	s_lshl_b64 s[0:1], s[4:5], 3
	v_mad_i64_i32 v[4:5], null, v0, s10, 0
	s_add_u32 s0, s8, s0
	s_addc_u32 s1, s9, s1
	s_load_b64 s[0:1], s[0:1], 0x0
	s_delay_alu instid0(VALU_DEP_1) | instskip(SKIP_1) | instid1(VALU_DEP_1)
	v_lshlrev_b64 v[4:5], 3, v[4:5]
	s_waitcnt lgkmcnt(0)
	v_add_co_u32 v1, vcc_lo, s0, v4
	s_delay_alu instid0(VALU_DEP_2) | instskip(NEXT) | instid1(VALU_DEP_2)
	v_add_co_ci_u32_e32 v4, vcc_lo, s1, v5, vcc_lo
	v_add_co_u32 v3, vcc_lo, v1, v6
	s_delay_alu instid0(VALU_DEP_2) | instskip(SKIP_3) | instid1(VALU_DEP_1)
	v_add_co_ci_u32_e32 v4, vcc_lo, v4, v7, vcc_lo
	v_add_nc_u32_e32 v1, -1, v2
	global_load_b64 v[3:4], v[3:4], off
	v_mul_lo_u32 v1, v1, v2
	v_lshrrev_b32_e32 v2, 31, v1
	s_delay_alu instid0(VALU_DEP_1) | instskip(NEXT) | instid1(VALU_DEP_1)
	v_add_nc_u32_e32 v1, v1, v2
	v_ashrrev_i32_e32 v1, 1, v1
	s_delay_alu instid0(VALU_DEP_1) | instskip(NEXT) | instid1(VALU_DEP_1)
	v_add_nc_u32_e32 v0, v1, v0
	v_ashrrev_i32_e32 v1, 31, v0
	s_delay_alu instid0(VALU_DEP_1) | instskip(NEXT) | instid1(VALU_DEP_1)
	v_lshlrev_b64 v[0:1], 3, v[0:1]
	v_add_co_u32 v0, vcc_lo, s2, v0
	s_delay_alu instid0(VALU_DEP_2)
	v_add_co_ci_u32_e32 v1, vcc_lo, s3, v1, vcc_lo
	s_waitcnt vmcnt(0)
	global_store_b64 v[0:1], v[3:4], off
.LBB40_2:
	s_nop 0
	s_sendmsg sendmsg(MSG_DEALLOC_VGPRS)
	s_endpgm
	.section	.rodata,"a",@progbits
	.p2align	6, 0x0
	.amdhsa_kernel _ZL40rocblas_copy_triangular_syrk_herk_kernelILb1ELb1ELb1E19rocblas_complex_numIfEPKPS1_Li16ELi16EEviT3_ilPT2_i
		.amdhsa_group_segment_fixed_size 0
		.amdhsa_private_segment_fixed_size 0
		.amdhsa_kernarg_size 304
		.amdhsa_user_sgpr_count 13
		.amdhsa_user_sgpr_dispatch_ptr 0
		.amdhsa_user_sgpr_queue_ptr 0
		.amdhsa_user_sgpr_kernarg_segment_ptr 1
		.amdhsa_user_sgpr_dispatch_id 0
		.amdhsa_user_sgpr_private_segment_size 0
		.amdhsa_wavefront_size32 1
		.amdhsa_uses_dynamic_stack 0
		.amdhsa_enable_private_segment 0
		.amdhsa_system_sgpr_workgroup_id_x 1
		.amdhsa_system_sgpr_workgroup_id_y 1
		.amdhsa_system_sgpr_workgroup_id_z 1
		.amdhsa_system_sgpr_workgroup_info 0
		.amdhsa_system_vgpr_workitem_id 1
		.amdhsa_next_free_vgpr 8
		.amdhsa_next_free_sgpr 16
		.amdhsa_reserve_vcc 1
		.amdhsa_float_round_mode_32 0
		.amdhsa_float_round_mode_16_64 0
		.amdhsa_float_denorm_mode_32 3
		.amdhsa_float_denorm_mode_16_64 3
		.amdhsa_dx10_clamp 1
		.amdhsa_ieee_mode 1
		.amdhsa_fp16_overflow 0
		.amdhsa_workgroup_processor_mode 1
		.amdhsa_memory_ordered 1
		.amdhsa_forward_progress 0
		.amdhsa_shared_vgpr_count 0
		.amdhsa_exception_fp_ieee_invalid_op 0
		.amdhsa_exception_fp_denorm_src 0
		.amdhsa_exception_fp_ieee_div_zero 0
		.amdhsa_exception_fp_ieee_overflow 0
		.amdhsa_exception_fp_ieee_underflow 0
		.amdhsa_exception_fp_ieee_inexact 0
		.amdhsa_exception_int_div_zero 0
	.end_amdhsa_kernel
	.section	.text._ZL40rocblas_copy_triangular_syrk_herk_kernelILb1ELb1ELb1E19rocblas_complex_numIfEPKPS1_Li16ELi16EEviT3_ilPT2_i,"axG",@progbits,_ZL40rocblas_copy_triangular_syrk_herk_kernelILb1ELb1ELb1E19rocblas_complex_numIfEPKPS1_Li16ELi16EEviT3_ilPT2_i,comdat
.Lfunc_end40:
	.size	_ZL40rocblas_copy_triangular_syrk_herk_kernelILb1ELb1ELb1E19rocblas_complex_numIfEPKPS1_Li16ELi16EEviT3_ilPT2_i, .Lfunc_end40-_ZL40rocblas_copy_triangular_syrk_herk_kernelILb1ELb1ELb1E19rocblas_complex_numIfEPKPS1_Li16ELi16EEviT3_ilPT2_i
                                        ; -- End function
	.section	.AMDGPU.csdata,"",@progbits
; Kernel info:
; codeLenInByte = 388
; NumSgprs: 18
; NumVgprs: 8
; ScratchSize: 0
; MemoryBound: 0
; FloatMode: 240
; IeeeMode: 1
; LDSByteSize: 0 bytes/workgroup (compile time only)
; SGPRBlocks: 2
; VGPRBlocks: 0
; NumSGPRsForWavesPerEU: 18
; NumVGPRsForWavesPerEU: 8
; Occupancy: 16
; WaveLimiterHint : 1
; COMPUTE_PGM_RSRC2:SCRATCH_EN: 0
; COMPUTE_PGM_RSRC2:USER_SGPR: 13
; COMPUTE_PGM_RSRC2:TRAP_HANDLER: 0
; COMPUTE_PGM_RSRC2:TGID_X_EN: 1
; COMPUTE_PGM_RSRC2:TGID_Y_EN: 1
; COMPUTE_PGM_RSRC2:TGID_Z_EN: 1
; COMPUTE_PGM_RSRC2:TIDIG_COMP_CNT: 1
	.section	.text._ZL40rocblas_copy_triangular_syrk_herk_kernelILb1ELb0ELb1E19rocblas_complex_numIfEPKPS1_Li16ELi16EEviT3_ilPT2_i,"axG",@progbits,_ZL40rocblas_copy_triangular_syrk_herk_kernelILb1ELb0ELb1E19rocblas_complex_numIfEPKPS1_Li16ELi16EEviT3_ilPT2_i,comdat
	.globl	_ZL40rocblas_copy_triangular_syrk_herk_kernelILb1ELb0ELb1E19rocblas_complex_numIfEPKPS1_Li16ELi16EEviT3_ilPT2_i ; -- Begin function _ZL40rocblas_copy_triangular_syrk_herk_kernelILb1ELb0ELb1E19rocblas_complex_numIfEPKPS1_Li16ELi16EEviT3_ilPT2_i
	.p2align	8
	.type	_ZL40rocblas_copy_triangular_syrk_herk_kernelILb1ELb0ELb1E19rocblas_complex_numIfEPKPS1_Li16ELi16EEviT3_ilPT2_i,@function
_ZL40rocblas_copy_triangular_syrk_herk_kernelILb1ELb0ELb1E19rocblas_complex_numIfEPKPS1_Li16ELi16EEviT3_ilPT2_i: ; @_ZL40rocblas_copy_triangular_syrk_herk_kernelILb1ELb0ELb1E19rocblas_complex_numIfEPKPS1_Li16ELi16EEviT3_ilPT2_i
; %bb.0:
	s_clause 0x1
	s_load_b32 s2, s[0:1], 0x3c
	s_load_b32 s3, s[0:1], 0x0
	v_bfe_u32 v1, v0, 10, 10
	v_and_b32_e32 v4, 0x3ff, v0
	s_waitcnt lgkmcnt(0)
	s_lshr_b32 s5, s2, 16
	s_and_b32 s2, s2, 0xffff
	v_mad_u64_u32 v[2:3], null, s14, s5, v[1:2]
	v_mad_u64_u32 v[0:1], null, s13, s2, v[4:5]
	s_delay_alu instid0(VALU_DEP_1) | instskip(SKIP_1) | instid1(VALU_DEP_2)
	v_max_i32_e32 v1, v2, v0
	v_cmp_lt_i32_e64 s2, v2, v0
	v_cmp_gt_i32_e32 vcc_lo, s3, v1
	s_delay_alu instid0(VALU_DEP_2) | instskip(NEXT) | instid1(SALU_CYCLE_1)
	s_and_b32 s2, s2, vcc_lo
	s_and_saveexec_b32 s5, s2
	s_cbranch_execz .LBB41_2
; %bb.1:
	s_load_b64 s[6:7], s[0:1], 0x20
	s_add_i32 s2, s3, -1
	s_load_b64 s[8:9], s[0:1], 0x8
	s_mul_hi_i32 s5, s2, s3
	s_mul_i32 s2, s2, s3
	s_lshr_b32 s10, s5, 31
	s_mov_b32 s4, s15
	s_add_u32 s10, s2, s10
	s_load_b32 s2, s[0:1], 0x10
	s_addc_u32 s11, s5, 0
	v_ashrrev_i32_e32 v3, 31, v2
	s_ashr_i64 s[10:11], s[10:11], 1
	s_delay_alu instid0(SALU_CYCLE_1)
	s_mul_i32 s1, s11, s15
	s_mul_hi_u32 s5, s10, s15
	s_mul_i32 s0, s10, s15
	s_add_i32 s1, s5, s1
	s_mov_b32 s5, 0
	s_lshl_b64 s[0:1], s[0:1], 3
	v_lshlrev_b64 v[6:7], 3, v[2:3]
	s_waitcnt lgkmcnt(0)
	s_add_u32 s6, s6, s0
	s_addc_u32 s7, s7, s1
	s_lshl_b64 s[0:1], s[4:5], 3
	s_delay_alu instid0(SALU_CYCLE_1) | instskip(SKIP_3) | instid1(VALU_DEP_1)
	s_add_u32 s0, s8, s0
	s_addc_u32 s1, s9, s1
	s_load_b64 s[0:1], s[0:1], 0x0
	v_mad_i64_i32 v[4:5], null, v0, s2, 0
	v_lshlrev_b64 v[4:5], 3, v[4:5]
	s_waitcnt lgkmcnt(0)
	s_delay_alu instid0(VALU_DEP_1) | instskip(NEXT) | instid1(VALU_DEP_2)
	v_add_co_u32 v1, vcc_lo, s0, v4
	v_add_co_ci_u32_e32 v4, vcc_lo, s1, v5, vcc_lo
	s_delay_alu instid0(VALU_DEP_2) | instskip(NEXT) | instid1(VALU_DEP_2)
	v_add_co_u32 v3, vcc_lo, v1, v6
	v_add_co_ci_u32_e32 v4, vcc_lo, v4, v7, vcc_lo
	v_not_b32_e32 v1, v2
	global_load_b64 v[3:4], v[3:4], off
	v_lshl_add_u32 v5, s3, 1, v1
	s_delay_alu instid0(VALU_DEP_1) | instskip(NEXT) | instid1(VALU_DEP_1)
	v_mul_lo_u32 v2, v5, v2
	v_lshrrev_b32_e32 v5, 31, v2
	s_delay_alu instid0(VALU_DEP_1) | instskip(NEXT) | instid1(VALU_DEP_1)
	v_add_nc_u32_e32 v2, v2, v5
	v_ashrrev_i32_e32 v2, 1, v2
	s_delay_alu instid0(VALU_DEP_1) | instskip(NEXT) | instid1(VALU_DEP_1)
	v_add3_u32 v0, v0, v1, v2
	v_ashrrev_i32_e32 v1, 31, v0
	s_delay_alu instid0(VALU_DEP_1) | instskip(NEXT) | instid1(VALU_DEP_1)
	v_lshlrev_b64 v[0:1], 3, v[0:1]
	v_add_co_u32 v0, vcc_lo, s6, v0
	s_delay_alu instid0(VALU_DEP_2)
	v_add_co_ci_u32_e32 v1, vcc_lo, s7, v1, vcc_lo
	s_waitcnt vmcnt(0)
	global_store_b64 v[0:1], v[3:4], off
.LBB41_2:
	s_nop 0
	s_sendmsg sendmsg(MSG_DEALLOC_VGPRS)
	s_endpgm
	.section	.rodata,"a",@progbits
	.p2align	6, 0x0
	.amdhsa_kernel _ZL40rocblas_copy_triangular_syrk_herk_kernelILb1ELb0ELb1E19rocblas_complex_numIfEPKPS1_Li16ELi16EEviT3_ilPT2_i
		.amdhsa_group_segment_fixed_size 0
		.amdhsa_private_segment_fixed_size 0
		.amdhsa_kernarg_size 304
		.amdhsa_user_sgpr_count 13
		.amdhsa_user_sgpr_dispatch_ptr 0
		.amdhsa_user_sgpr_queue_ptr 0
		.amdhsa_user_sgpr_kernarg_segment_ptr 1
		.amdhsa_user_sgpr_dispatch_id 0
		.amdhsa_user_sgpr_private_segment_size 0
		.amdhsa_wavefront_size32 1
		.amdhsa_uses_dynamic_stack 0
		.amdhsa_enable_private_segment 0
		.amdhsa_system_sgpr_workgroup_id_x 1
		.amdhsa_system_sgpr_workgroup_id_y 1
		.amdhsa_system_sgpr_workgroup_id_z 1
		.amdhsa_system_sgpr_workgroup_info 0
		.amdhsa_system_vgpr_workitem_id 1
		.amdhsa_next_free_vgpr 8
		.amdhsa_next_free_sgpr 16
		.amdhsa_reserve_vcc 1
		.amdhsa_float_round_mode_32 0
		.amdhsa_float_round_mode_16_64 0
		.amdhsa_float_denorm_mode_32 3
		.amdhsa_float_denorm_mode_16_64 3
		.amdhsa_dx10_clamp 1
		.amdhsa_ieee_mode 1
		.amdhsa_fp16_overflow 0
		.amdhsa_workgroup_processor_mode 1
		.amdhsa_memory_ordered 1
		.amdhsa_forward_progress 0
		.amdhsa_shared_vgpr_count 0
		.amdhsa_exception_fp_ieee_invalid_op 0
		.amdhsa_exception_fp_denorm_src 0
		.amdhsa_exception_fp_ieee_div_zero 0
		.amdhsa_exception_fp_ieee_overflow 0
		.amdhsa_exception_fp_ieee_underflow 0
		.amdhsa_exception_fp_ieee_inexact 0
		.amdhsa_exception_int_div_zero 0
	.end_amdhsa_kernel
	.section	.text._ZL40rocblas_copy_triangular_syrk_herk_kernelILb1ELb0ELb1E19rocblas_complex_numIfEPKPS1_Li16ELi16EEviT3_ilPT2_i,"axG",@progbits,_ZL40rocblas_copy_triangular_syrk_herk_kernelILb1ELb0ELb1E19rocblas_complex_numIfEPKPS1_Li16ELi16EEviT3_ilPT2_i,comdat
.Lfunc_end41:
	.size	_ZL40rocblas_copy_triangular_syrk_herk_kernelILb1ELb0ELb1E19rocblas_complex_numIfEPKPS1_Li16ELi16EEviT3_ilPT2_i, .Lfunc_end41-_ZL40rocblas_copy_triangular_syrk_herk_kernelILb1ELb0ELb1E19rocblas_complex_numIfEPKPS1_Li16ELi16EEviT3_ilPT2_i
                                        ; -- End function
	.section	.AMDGPU.csdata,"",@progbits
; Kernel info:
; codeLenInByte = 404
; NumSgprs: 18
; NumVgprs: 8
; ScratchSize: 0
; MemoryBound: 0
; FloatMode: 240
; IeeeMode: 1
; LDSByteSize: 0 bytes/workgroup (compile time only)
; SGPRBlocks: 2
; VGPRBlocks: 0
; NumSGPRsForWavesPerEU: 18
; NumVGPRsForWavesPerEU: 8
; Occupancy: 16
; WaveLimiterHint : 1
; COMPUTE_PGM_RSRC2:SCRATCH_EN: 0
; COMPUTE_PGM_RSRC2:USER_SGPR: 13
; COMPUTE_PGM_RSRC2:TRAP_HANDLER: 0
; COMPUTE_PGM_RSRC2:TGID_X_EN: 1
; COMPUTE_PGM_RSRC2:TGID_Y_EN: 1
; COMPUTE_PGM_RSRC2:TGID_Z_EN: 1
; COMPUTE_PGM_RSRC2:TIDIG_COMP_CNT: 1
	.section	.text._ZL40rocblas_copy_triangular_syrk_herk_kernelILb0ELb1ELb1E19rocblas_complex_numIfEPKPS1_Li16ELi16EEviT3_ilPT2_i,"axG",@progbits,_ZL40rocblas_copy_triangular_syrk_herk_kernelILb0ELb1ELb1E19rocblas_complex_numIfEPKPS1_Li16ELi16EEviT3_ilPT2_i,comdat
	.globl	_ZL40rocblas_copy_triangular_syrk_herk_kernelILb0ELb1ELb1E19rocblas_complex_numIfEPKPS1_Li16ELi16EEviT3_ilPT2_i ; -- Begin function _ZL40rocblas_copy_triangular_syrk_herk_kernelILb0ELb1ELb1E19rocblas_complex_numIfEPKPS1_Li16ELi16EEviT3_ilPT2_i
	.p2align	8
	.type	_ZL40rocblas_copy_triangular_syrk_herk_kernelILb0ELb1ELb1E19rocblas_complex_numIfEPKPS1_Li16ELi16EEviT3_ilPT2_i,@function
_ZL40rocblas_copy_triangular_syrk_herk_kernelILb0ELb1ELb1E19rocblas_complex_numIfEPKPS1_Li16ELi16EEviT3_ilPT2_i: ; @_ZL40rocblas_copy_triangular_syrk_herk_kernelILb0ELb1ELb1E19rocblas_complex_numIfEPKPS1_Li16ELi16EEviT3_ilPT2_i
; %bb.0:
	s_clause 0x2
	s_load_b64 s[2:3], s[0:1], 0x8
	s_load_b32 s10, s[0:1], 0x3c
	s_load_b32 s9, s[0:1], 0x0
	s_mov_b32 s6, s15
	s_mov_b32 s7, 0
	v_bfe_u32 v2, v0, 10, 10
	s_lshl_b64 s[4:5], s[6:7], 3
	v_and_b32_e32 v4, 0x3ff, v0
	s_load_b32 s8, s[0:1], 0x10
	s_waitcnt lgkmcnt(0)
	s_add_u32 s2, s2, s4
	s_addc_u32 s3, s3, s5
	s_lshr_b32 s7, s10, 16
	s_load_b64 s[4:5], s[2:3], 0x0
	s_and_b32 s2, s10, 0xffff
	v_mad_u64_u32 v[0:1], null, s14, s7, v[2:3]
	v_mad_u64_u32 v[2:3], null, s13, s2, v[4:5]
	s_delay_alu instid0(VALU_DEP_2) | instskip(SKIP_1) | instid1(VALU_DEP_3)
	v_cmp_gt_i32_e32 vcc_lo, s9, v0
	v_ashrrev_i32_e32 v1, 31, v0
	v_cmp_gt_i32_e64 s2, s9, v2
	v_cmp_gt_i32_e64 s3, v0, v2
	s_delay_alu instid0(VALU_DEP_2)
	s_and_b32 s2, s2, vcc_lo
	s_delay_alu instid0(VALU_DEP_1) | instid1(SALU_CYCLE_1)
	s_and_b32 s3, s2, s3
	s_delay_alu instid0(SALU_CYCLE_1)
	s_and_saveexec_b32 s2, s3
	s_cbranch_execz .LBB42_2
; %bb.1:
	v_add_nc_u32_e32 v3, -1, v0
	s_load_b64 s[0:1], s[0:1], 0x20
	s_add_i32 s3, s9, -1
	v_mad_i64_i32 v[5:6], null, v2, s8, 0
	s_delay_alu instid0(VALU_DEP_2)
	v_mul_lo_u32 v3, v3, v0
	s_mul_hi_i32 s7, s3, s9
	s_mul_i32 s3, s3, s9
	s_lshr_b32 s9, s7, 31
	v_lshlrev_b64 v[7:8], 3, v[0:1]
	s_add_u32 s10, s3, s9
	s_addc_u32 s11, s7, 0
	v_lshlrev_b64 v[5:6], 3, v[5:6]
	v_lshrrev_b32_e32 v4, 31, v3
	s_ashr_i64 s[10:11], s[10:11], 1
	s_delay_alu instid0(SALU_CYCLE_1) | instskip(SKIP_1) | instid1(VALU_DEP_1)
	s_mul_i32 s3, s11, s6
	s_mul_hi_u32 s7, s10, s6
	v_add_nc_u32_e32 v3, v3, v4
	s_mul_i32 s6, s10, s6
	s_add_i32 s7, s7, s3
	s_delay_alu instid0(SALU_CYCLE_1) | instskip(NEXT) | instid1(VALU_DEP_1)
	s_lshl_b64 s[6:7], s[6:7], 3
	v_ashrrev_i32_e32 v3, 1, v3
	s_waitcnt lgkmcnt(0)
	s_add_u32 s0, s0, s6
	s_addc_u32 s1, s1, s7
	s_delay_alu instid0(VALU_DEP_1) | instskip(NEXT) | instid1(VALU_DEP_1)
	v_add_nc_u32_e32 v3, v3, v2
	v_ashrrev_i32_e32 v4, 31, v3
	s_delay_alu instid0(VALU_DEP_1) | instskip(NEXT) | instid1(VALU_DEP_1)
	v_lshlrev_b64 v[3:4], 3, v[3:4]
	v_add_co_u32 v3, s0, s0, v3
	s_delay_alu instid0(VALU_DEP_1) | instskip(SKIP_1) | instid1(VALU_DEP_1)
	v_add_co_ci_u32_e64 v4, s0, s1, v4, s0
	v_add_co_u32 v5, s0, s4, v5
	v_add_co_ci_u32_e64 v6, s0, s5, v6, s0
	global_load_b64 v[3:4], v[3:4], off
	v_add_co_u32 v5, s0, v5, v7
	s_delay_alu instid0(VALU_DEP_1)
	v_add_co_ci_u32_e64 v6, s0, v6, v8, s0
	s_waitcnt vmcnt(0)
	global_store_b64 v[5:6], v[3:4], off
.LBB42_2:
	s_or_b32 exec_lo, exec_lo, s2
	v_cmp_eq_u32_e64 s0, v0, v2
	s_delay_alu instid0(VALU_DEP_1) | instskip(NEXT) | instid1(SALU_CYCLE_1)
	s_and_b32 s0, vcc_lo, s0
	s_and_saveexec_b32 s1, s0
	s_cbranch_execz .LBB42_4
; %bb.3:
	v_mad_i64_i32 v[2:3], null, v0, s8, v[0:1]
	s_delay_alu instid0(VALU_DEP_1) | instskip(SKIP_2) | instid1(VALU_DEP_2)
	v_lshlrev_b64 v[0:1], 3, v[2:3]
	v_mov_b32_e32 v2, 0
	s_waitcnt lgkmcnt(0)
	v_add_co_u32 v0, vcc_lo, s4, v0
	s_delay_alu instid0(VALU_DEP_3)
	v_add_co_ci_u32_e32 v1, vcc_lo, s5, v1, vcc_lo
	global_store_b32 v[0:1], v2, off offset:4
.LBB42_4:
	s_nop 0
	s_sendmsg sendmsg(MSG_DEALLOC_VGPRS)
	s_endpgm
	.section	.rodata,"a",@progbits
	.p2align	6, 0x0
	.amdhsa_kernel _ZL40rocblas_copy_triangular_syrk_herk_kernelILb0ELb1ELb1E19rocblas_complex_numIfEPKPS1_Li16ELi16EEviT3_ilPT2_i
		.amdhsa_group_segment_fixed_size 0
		.amdhsa_private_segment_fixed_size 0
		.amdhsa_kernarg_size 304
		.amdhsa_user_sgpr_count 13
		.amdhsa_user_sgpr_dispatch_ptr 0
		.amdhsa_user_sgpr_queue_ptr 0
		.amdhsa_user_sgpr_kernarg_segment_ptr 1
		.amdhsa_user_sgpr_dispatch_id 0
		.amdhsa_user_sgpr_private_segment_size 0
		.amdhsa_wavefront_size32 1
		.amdhsa_uses_dynamic_stack 0
		.amdhsa_enable_private_segment 0
		.amdhsa_system_sgpr_workgroup_id_x 1
		.amdhsa_system_sgpr_workgroup_id_y 1
		.amdhsa_system_sgpr_workgroup_id_z 1
		.amdhsa_system_sgpr_workgroup_info 0
		.amdhsa_system_vgpr_workitem_id 1
		.amdhsa_next_free_vgpr 9
		.amdhsa_next_free_sgpr 16
		.amdhsa_reserve_vcc 1
		.amdhsa_float_round_mode_32 0
		.amdhsa_float_round_mode_16_64 0
		.amdhsa_float_denorm_mode_32 3
		.amdhsa_float_denorm_mode_16_64 3
		.amdhsa_dx10_clamp 1
		.amdhsa_ieee_mode 1
		.amdhsa_fp16_overflow 0
		.amdhsa_workgroup_processor_mode 1
		.amdhsa_memory_ordered 1
		.amdhsa_forward_progress 0
		.amdhsa_shared_vgpr_count 0
		.amdhsa_exception_fp_ieee_invalid_op 0
		.amdhsa_exception_fp_denorm_src 0
		.amdhsa_exception_fp_ieee_div_zero 0
		.amdhsa_exception_fp_ieee_overflow 0
		.amdhsa_exception_fp_ieee_underflow 0
		.amdhsa_exception_fp_ieee_inexact 0
		.amdhsa_exception_int_div_zero 0
	.end_amdhsa_kernel
	.section	.text._ZL40rocblas_copy_triangular_syrk_herk_kernelILb0ELb1ELb1E19rocblas_complex_numIfEPKPS1_Li16ELi16EEviT3_ilPT2_i,"axG",@progbits,_ZL40rocblas_copy_triangular_syrk_herk_kernelILb0ELb1ELb1E19rocblas_complex_numIfEPKPS1_Li16ELi16EEviT3_ilPT2_i,comdat
.Lfunc_end42:
	.size	_ZL40rocblas_copy_triangular_syrk_herk_kernelILb0ELb1ELb1E19rocblas_complex_numIfEPKPS1_Li16ELi16EEviT3_ilPT2_i, .Lfunc_end42-_ZL40rocblas_copy_triangular_syrk_herk_kernelILb0ELb1ELb1E19rocblas_complex_numIfEPKPS1_Li16ELi16EEviT3_ilPT2_i
                                        ; -- End function
	.section	.AMDGPU.csdata,"",@progbits
; Kernel info:
; codeLenInByte = 488
; NumSgprs: 18
; NumVgprs: 9
; ScratchSize: 0
; MemoryBound: 0
; FloatMode: 240
; IeeeMode: 1
; LDSByteSize: 0 bytes/workgroup (compile time only)
; SGPRBlocks: 2
; VGPRBlocks: 1
; NumSGPRsForWavesPerEU: 18
; NumVGPRsForWavesPerEU: 9
; Occupancy: 16
; WaveLimiterHint : 1
; COMPUTE_PGM_RSRC2:SCRATCH_EN: 0
; COMPUTE_PGM_RSRC2:USER_SGPR: 13
; COMPUTE_PGM_RSRC2:TRAP_HANDLER: 0
; COMPUTE_PGM_RSRC2:TGID_X_EN: 1
; COMPUTE_PGM_RSRC2:TGID_Y_EN: 1
; COMPUTE_PGM_RSRC2:TGID_Z_EN: 1
; COMPUTE_PGM_RSRC2:TIDIG_COMP_CNT: 1
	.section	.text._ZL40rocblas_copy_triangular_syrk_herk_kernelILb0ELb0ELb1E19rocblas_complex_numIfEPKPS1_Li16ELi16EEviT3_ilPT2_i,"axG",@progbits,_ZL40rocblas_copy_triangular_syrk_herk_kernelILb0ELb0ELb1E19rocblas_complex_numIfEPKPS1_Li16ELi16EEviT3_ilPT2_i,comdat
	.globl	_ZL40rocblas_copy_triangular_syrk_herk_kernelILb0ELb0ELb1E19rocblas_complex_numIfEPKPS1_Li16ELi16EEviT3_ilPT2_i ; -- Begin function _ZL40rocblas_copy_triangular_syrk_herk_kernelILb0ELb0ELb1E19rocblas_complex_numIfEPKPS1_Li16ELi16EEviT3_ilPT2_i
	.p2align	8
	.type	_ZL40rocblas_copy_triangular_syrk_herk_kernelILb0ELb0ELb1E19rocblas_complex_numIfEPKPS1_Li16ELi16EEviT3_ilPT2_i,@function
_ZL40rocblas_copy_triangular_syrk_herk_kernelILb0ELb0ELb1E19rocblas_complex_numIfEPKPS1_Li16ELi16EEviT3_ilPT2_i: ; @_ZL40rocblas_copy_triangular_syrk_herk_kernelILb0ELb0ELb1E19rocblas_complex_numIfEPKPS1_Li16ELi16EEviT3_ilPT2_i
; %bb.0:
	s_clause 0x2
	s_load_b64 s[2:3], s[0:1], 0x8
	s_load_b32 s10, s[0:1], 0x3c
	s_load_b32 s9, s[0:1], 0x0
	s_mov_b32 s6, s15
	s_mov_b32 s7, 0
	v_bfe_u32 v4, v0, 10, 10
	s_lshl_b64 s[4:5], s[6:7], 3
	v_and_b32_e32 v0, 0x3ff, v0
	s_load_b32 s8, s[0:1], 0x10
	s_waitcnt lgkmcnt(0)
	s_add_u32 s2, s2, s4
	s_addc_u32 s3, s3, s5
	s_lshr_b32 s7, s10, 16
	s_load_b64 s[4:5], s[2:3], 0x0
	s_and_b32 s10, s10, 0xffff
	s_delay_alu instid0(SALU_CYCLE_1) | instskip(SKIP_1) | instid1(VALU_DEP_2)
	v_mad_u64_u32 v[2:3], null, s13, s10, v[0:1]
	v_mad_u64_u32 v[0:1], null, s14, s7, v[4:5]
	v_cmp_gt_i32_e64 s2, s9, v2
	s_delay_alu instid0(VALU_DEP_2) | instskip(SKIP_2) | instid1(VALU_DEP_3)
	v_cmp_lt_i32_e64 s3, v0, v2
	v_cmp_gt_i32_e32 vcc_lo, s9, v0
	v_ashrrev_i32_e32 v1, 31, v0
	s_and_b32 s2, s2, s3
	s_delay_alu instid0(SALU_CYCLE_1) | instskip(NEXT) | instid1(SALU_CYCLE_1)
	s_and_b32 s3, vcc_lo, s2
	s_and_saveexec_b32 s2, s3
	s_cbranch_execz .LBB43_2
; %bb.1:
	v_not_b32_e32 v3, v0
	s_load_b64 s[0:1], s[0:1], 0x20
	s_add_i32 s3, s9, -1
	v_lshlrev_b64 v[7:8], 3, v[0:1]
	s_mul_hi_i32 s7, s3, s9
	v_lshl_add_u32 v4, s9, 1, v3
	s_mul_i32 s3, s3, s9
	s_lshr_b32 s9, s7, 31
	s_delay_alu instid0(SALU_CYCLE_1) | instskip(NEXT) | instid1(VALU_DEP_1)
	s_add_u32 s10, s3, s9
	v_mul_lo_u32 v4, v4, v0
	s_addc_u32 s11, s7, 0
	s_delay_alu instid0(SALU_CYCLE_1) | instskip(NEXT) | instid1(SALU_CYCLE_1)
	s_ashr_i64 s[10:11], s[10:11], 1
	s_mul_i32 s3, s11, s6
	s_mul_hi_u32 s7, s10, s6
	s_mul_i32 s6, s10, s6
	s_delay_alu instid0(VALU_DEP_1) | instskip(SKIP_1) | instid1(SALU_CYCLE_1)
	v_lshrrev_b32_e32 v5, 31, v4
	s_add_i32 s7, s7, s3
	s_lshl_b64 s[6:7], s[6:7], 3
	s_waitcnt lgkmcnt(0)
	s_add_u32 s0, s0, s6
	v_add_nc_u32_e32 v4, v4, v5
	s_addc_u32 s1, s1, s7
	v_mad_i64_i32 v[5:6], null, v2, s8, 0
	s_delay_alu instid0(VALU_DEP_2) | instskip(NEXT) | instid1(VALU_DEP_2)
	v_ashrrev_i32_e32 v4, 1, v4
	v_lshlrev_b64 v[5:6], 3, v[5:6]
	s_delay_alu instid0(VALU_DEP_2) | instskip(NEXT) | instid1(VALU_DEP_1)
	v_add3_u32 v3, v2, v3, v4
	v_ashrrev_i32_e32 v4, 31, v3
	s_delay_alu instid0(VALU_DEP_1) | instskip(NEXT) | instid1(VALU_DEP_1)
	v_lshlrev_b64 v[3:4], 3, v[3:4]
	v_add_co_u32 v3, s0, s0, v3
	s_delay_alu instid0(VALU_DEP_1) | instskip(SKIP_1) | instid1(VALU_DEP_1)
	v_add_co_ci_u32_e64 v4, s0, s1, v4, s0
	v_add_co_u32 v5, s0, s4, v5
	v_add_co_ci_u32_e64 v6, s0, s5, v6, s0
	global_load_b64 v[3:4], v[3:4], off
	v_add_co_u32 v5, s0, v5, v7
	s_delay_alu instid0(VALU_DEP_1)
	v_add_co_ci_u32_e64 v6, s0, v6, v8, s0
	s_waitcnt vmcnt(0)
	global_store_b64 v[5:6], v[3:4], off
.LBB43_2:
	s_or_b32 exec_lo, exec_lo, s2
	v_cmp_eq_u32_e64 s0, v0, v2
	s_delay_alu instid0(VALU_DEP_1) | instskip(NEXT) | instid1(SALU_CYCLE_1)
	s_and_b32 s0, vcc_lo, s0
	s_and_saveexec_b32 s1, s0
	s_cbranch_execz .LBB43_4
; %bb.3:
	v_mad_i64_i32 v[2:3], null, v0, s8, v[0:1]
	s_delay_alu instid0(VALU_DEP_1) | instskip(SKIP_2) | instid1(VALU_DEP_2)
	v_lshlrev_b64 v[0:1], 3, v[2:3]
	v_mov_b32_e32 v2, 0
	s_waitcnt lgkmcnt(0)
	v_add_co_u32 v0, vcc_lo, s4, v0
	s_delay_alu instid0(VALU_DEP_3)
	v_add_co_ci_u32_e32 v1, vcc_lo, s5, v1, vcc_lo
	global_store_b32 v[0:1], v2, off offset:4
.LBB43_4:
	s_nop 0
	s_sendmsg sendmsg(MSG_DEALLOC_VGPRS)
	s_endpgm
	.section	.rodata,"a",@progbits
	.p2align	6, 0x0
	.amdhsa_kernel _ZL40rocblas_copy_triangular_syrk_herk_kernelILb0ELb0ELb1E19rocblas_complex_numIfEPKPS1_Li16ELi16EEviT3_ilPT2_i
		.amdhsa_group_segment_fixed_size 0
		.amdhsa_private_segment_fixed_size 0
		.amdhsa_kernarg_size 304
		.amdhsa_user_sgpr_count 13
		.amdhsa_user_sgpr_dispatch_ptr 0
		.amdhsa_user_sgpr_queue_ptr 0
		.amdhsa_user_sgpr_kernarg_segment_ptr 1
		.amdhsa_user_sgpr_dispatch_id 0
		.amdhsa_user_sgpr_private_segment_size 0
		.amdhsa_wavefront_size32 1
		.amdhsa_uses_dynamic_stack 0
		.amdhsa_enable_private_segment 0
		.amdhsa_system_sgpr_workgroup_id_x 1
		.amdhsa_system_sgpr_workgroup_id_y 1
		.amdhsa_system_sgpr_workgroup_id_z 1
		.amdhsa_system_sgpr_workgroup_info 0
		.amdhsa_system_vgpr_workitem_id 1
		.amdhsa_next_free_vgpr 9
		.amdhsa_next_free_sgpr 16
		.amdhsa_reserve_vcc 1
		.amdhsa_float_round_mode_32 0
		.amdhsa_float_round_mode_16_64 0
		.amdhsa_float_denorm_mode_32 3
		.amdhsa_float_denorm_mode_16_64 3
		.amdhsa_dx10_clamp 1
		.amdhsa_ieee_mode 1
		.amdhsa_fp16_overflow 0
		.amdhsa_workgroup_processor_mode 1
		.amdhsa_memory_ordered 1
		.amdhsa_forward_progress 0
		.amdhsa_shared_vgpr_count 0
		.amdhsa_exception_fp_ieee_invalid_op 0
		.amdhsa_exception_fp_denorm_src 0
		.amdhsa_exception_fp_ieee_div_zero 0
		.amdhsa_exception_fp_ieee_overflow 0
		.amdhsa_exception_fp_ieee_underflow 0
		.amdhsa_exception_fp_ieee_inexact 0
		.amdhsa_exception_int_div_zero 0
	.end_amdhsa_kernel
	.section	.text._ZL40rocblas_copy_triangular_syrk_herk_kernelILb0ELb0ELb1E19rocblas_complex_numIfEPKPS1_Li16ELi16EEviT3_ilPT2_i,"axG",@progbits,_ZL40rocblas_copy_triangular_syrk_herk_kernelILb0ELb0ELb1E19rocblas_complex_numIfEPKPS1_Li16ELi16EEviT3_ilPT2_i,comdat
.Lfunc_end43:
	.size	_ZL40rocblas_copy_triangular_syrk_herk_kernelILb0ELb0ELb1E19rocblas_complex_numIfEPKPS1_Li16ELi16EEviT3_ilPT2_i, .Lfunc_end43-_ZL40rocblas_copy_triangular_syrk_herk_kernelILb0ELb0ELb1E19rocblas_complex_numIfEPKPS1_Li16ELi16EEviT3_ilPT2_i
                                        ; -- End function
	.section	.AMDGPU.csdata,"",@progbits
; Kernel info:
; codeLenInByte = 500
; NumSgprs: 18
; NumVgprs: 9
; ScratchSize: 0
; MemoryBound: 0
; FloatMode: 240
; IeeeMode: 1
; LDSByteSize: 0 bytes/workgroup (compile time only)
; SGPRBlocks: 2
; VGPRBlocks: 1
; NumSGPRsForWavesPerEU: 18
; NumVGPRsForWavesPerEU: 9
; Occupancy: 16
; WaveLimiterHint : 1
; COMPUTE_PGM_RSRC2:SCRATCH_EN: 0
; COMPUTE_PGM_RSRC2:USER_SGPR: 13
; COMPUTE_PGM_RSRC2:TRAP_HANDLER: 0
; COMPUTE_PGM_RSRC2:TGID_X_EN: 1
; COMPUTE_PGM_RSRC2:TGID_Y_EN: 1
; COMPUTE_PGM_RSRC2:TGID_Z_EN: 1
; COMPUTE_PGM_RSRC2:TIDIG_COMP_CNT: 1
	.section	.text._ZL40rocblas_copy_triangular_syrk_herk_kernelILb1ELb1ELb1E19rocblas_complex_numIdEPKPS1_Li16ELi16EEviT3_ilPT2_i,"axG",@progbits,_ZL40rocblas_copy_triangular_syrk_herk_kernelILb1ELb1ELb1E19rocblas_complex_numIdEPKPS1_Li16ELi16EEviT3_ilPT2_i,comdat
	.globl	_ZL40rocblas_copy_triangular_syrk_herk_kernelILb1ELb1ELb1E19rocblas_complex_numIdEPKPS1_Li16ELi16EEviT3_ilPT2_i ; -- Begin function _ZL40rocblas_copy_triangular_syrk_herk_kernelILb1ELb1ELb1E19rocblas_complex_numIdEPKPS1_Li16ELi16EEviT3_ilPT2_i
	.p2align	8
	.type	_ZL40rocblas_copy_triangular_syrk_herk_kernelILb1ELb1ELb1E19rocblas_complex_numIdEPKPS1_Li16ELi16EEviT3_ilPT2_i,@function
_ZL40rocblas_copy_triangular_syrk_herk_kernelILb1ELb1ELb1E19rocblas_complex_numIdEPKPS1_Li16ELi16EEviT3_ilPT2_i: ; @_ZL40rocblas_copy_triangular_syrk_herk_kernelILb1ELb1ELb1E19rocblas_complex_numIdEPKPS1_Li16ELi16EEviT3_ilPT2_i
; %bb.0:
	s_clause 0x1
	s_load_b32 s2, s[0:1], 0x3c
	s_load_b32 s3, s[0:1], 0x0
	v_bfe_u32 v1, v0, 10, 10
	v_and_b32_e32 v4, 0x3ff, v0
	s_waitcnt lgkmcnt(0)
	s_lshr_b32 s5, s2, 16
	s_and_b32 s2, s2, 0xffff
	v_mad_u64_u32 v[2:3], null, s14, s5, v[1:2]
	v_mad_u64_u32 v[0:1], null, s13, s2, v[4:5]
	s_delay_alu instid0(VALU_DEP_1) | instskip(SKIP_1) | instid1(VALU_DEP_2)
	v_max_i32_e32 v1, v2, v0
	v_cmp_gt_i32_e64 s2, v2, v0
	v_cmp_gt_i32_e32 vcc_lo, s3, v1
	s_delay_alu instid0(VALU_DEP_2) | instskip(NEXT) | instid1(SALU_CYCLE_1)
	s_and_b32 s2, s2, vcc_lo
	s_and_saveexec_b32 s5, s2
	s_cbranch_execz .LBB44_2
; %bb.1:
	s_clause 0x1
	s_load_b64 s[6:7], s[0:1], 0x20
	s_load_b32 s10, s[0:1], 0x10
	s_add_i32 s2, s3, -1
	s_load_b64 s[8:9], s[0:1], 0x8
	s_mul_hi_i32 s5, s2, s3
	s_mul_i32 s2, s2, s3
	s_lshr_b32 s3, s5, 31
	s_mov_b32 s4, s15
	s_add_u32 s2, s2, s3
	s_addc_u32 s3, s5, 0
	s_mov_b32 s5, 0
	s_ashr_i64 s[2:3], s[2:3], 1
	v_ashrrev_i32_e32 v3, 31, v2
	s_mul_i32 s1, s3, s15
	s_mul_hi_u32 s3, s2, s15
	s_mul_i32 s0, s2, s15
	s_add_i32 s1, s3, s1
	v_lshlrev_b64 v[6:7], 4, v[2:3]
	s_lshl_b64 s[0:1], s[0:1], 4
	s_waitcnt lgkmcnt(0)
	s_add_u32 s2, s6, s0
	s_addc_u32 s3, s7, s1
	s_lshl_b64 s[0:1], s[4:5], 3
	v_mad_i64_i32 v[4:5], null, v0, s10, 0
	s_add_u32 s0, s8, s0
	s_addc_u32 s1, s9, s1
	s_load_b64 s[0:1], s[0:1], 0x0
	s_delay_alu instid0(VALU_DEP_1) | instskip(SKIP_1) | instid1(VALU_DEP_1)
	v_lshlrev_b64 v[4:5], 4, v[4:5]
	s_waitcnt lgkmcnt(0)
	v_add_co_u32 v1, vcc_lo, s0, v4
	s_delay_alu instid0(VALU_DEP_2) | instskip(NEXT) | instid1(VALU_DEP_2)
	v_add_co_ci_u32_e32 v4, vcc_lo, s1, v5, vcc_lo
	v_add_co_u32 v3, vcc_lo, v1, v6
	s_delay_alu instid0(VALU_DEP_2) | instskip(SKIP_3) | instid1(VALU_DEP_1)
	v_add_co_ci_u32_e32 v4, vcc_lo, v4, v7, vcc_lo
	v_add_nc_u32_e32 v1, -1, v2
	global_load_b128 v[3:6], v[3:4], off
	v_mul_lo_u32 v1, v1, v2
	v_lshrrev_b32_e32 v2, 31, v1
	s_delay_alu instid0(VALU_DEP_1) | instskip(NEXT) | instid1(VALU_DEP_1)
	v_add_nc_u32_e32 v1, v1, v2
	v_ashrrev_i32_e32 v1, 1, v1
	s_delay_alu instid0(VALU_DEP_1) | instskip(NEXT) | instid1(VALU_DEP_1)
	v_add_nc_u32_e32 v0, v1, v0
	v_ashrrev_i32_e32 v1, 31, v0
	s_delay_alu instid0(VALU_DEP_1) | instskip(NEXT) | instid1(VALU_DEP_1)
	v_lshlrev_b64 v[0:1], 4, v[0:1]
	v_add_co_u32 v0, vcc_lo, s2, v0
	s_delay_alu instid0(VALU_DEP_2)
	v_add_co_ci_u32_e32 v1, vcc_lo, s3, v1, vcc_lo
	s_waitcnt vmcnt(0)
	global_store_b128 v[0:1], v[3:6], off
.LBB44_2:
	s_nop 0
	s_sendmsg sendmsg(MSG_DEALLOC_VGPRS)
	s_endpgm
	.section	.rodata,"a",@progbits
	.p2align	6, 0x0
	.amdhsa_kernel _ZL40rocblas_copy_triangular_syrk_herk_kernelILb1ELb1ELb1E19rocblas_complex_numIdEPKPS1_Li16ELi16EEviT3_ilPT2_i
		.amdhsa_group_segment_fixed_size 0
		.amdhsa_private_segment_fixed_size 0
		.amdhsa_kernarg_size 304
		.amdhsa_user_sgpr_count 13
		.amdhsa_user_sgpr_dispatch_ptr 0
		.amdhsa_user_sgpr_queue_ptr 0
		.amdhsa_user_sgpr_kernarg_segment_ptr 1
		.amdhsa_user_sgpr_dispatch_id 0
		.amdhsa_user_sgpr_private_segment_size 0
		.amdhsa_wavefront_size32 1
		.amdhsa_uses_dynamic_stack 0
		.amdhsa_enable_private_segment 0
		.amdhsa_system_sgpr_workgroup_id_x 1
		.amdhsa_system_sgpr_workgroup_id_y 1
		.amdhsa_system_sgpr_workgroup_id_z 1
		.amdhsa_system_sgpr_workgroup_info 0
		.amdhsa_system_vgpr_workitem_id 1
		.amdhsa_next_free_vgpr 8
		.amdhsa_next_free_sgpr 16
		.amdhsa_reserve_vcc 1
		.amdhsa_float_round_mode_32 0
		.amdhsa_float_round_mode_16_64 0
		.amdhsa_float_denorm_mode_32 3
		.amdhsa_float_denorm_mode_16_64 3
		.amdhsa_dx10_clamp 1
		.amdhsa_ieee_mode 1
		.amdhsa_fp16_overflow 0
		.amdhsa_workgroup_processor_mode 1
		.amdhsa_memory_ordered 1
		.amdhsa_forward_progress 0
		.amdhsa_shared_vgpr_count 0
		.amdhsa_exception_fp_ieee_invalid_op 0
		.amdhsa_exception_fp_denorm_src 0
		.amdhsa_exception_fp_ieee_div_zero 0
		.amdhsa_exception_fp_ieee_overflow 0
		.amdhsa_exception_fp_ieee_underflow 0
		.amdhsa_exception_fp_ieee_inexact 0
		.amdhsa_exception_int_div_zero 0
	.end_amdhsa_kernel
	.section	.text._ZL40rocblas_copy_triangular_syrk_herk_kernelILb1ELb1ELb1E19rocblas_complex_numIdEPKPS1_Li16ELi16EEviT3_ilPT2_i,"axG",@progbits,_ZL40rocblas_copy_triangular_syrk_herk_kernelILb1ELb1ELb1E19rocblas_complex_numIdEPKPS1_Li16ELi16EEviT3_ilPT2_i,comdat
.Lfunc_end44:
	.size	_ZL40rocblas_copy_triangular_syrk_herk_kernelILb1ELb1ELb1E19rocblas_complex_numIdEPKPS1_Li16ELi16EEviT3_ilPT2_i, .Lfunc_end44-_ZL40rocblas_copy_triangular_syrk_herk_kernelILb1ELb1ELb1E19rocblas_complex_numIdEPKPS1_Li16ELi16EEviT3_ilPT2_i
                                        ; -- End function
	.section	.AMDGPU.csdata,"",@progbits
; Kernel info:
; codeLenInByte = 388
; NumSgprs: 18
; NumVgprs: 8
; ScratchSize: 0
; MemoryBound: 0
; FloatMode: 240
; IeeeMode: 1
; LDSByteSize: 0 bytes/workgroup (compile time only)
; SGPRBlocks: 2
; VGPRBlocks: 0
; NumSGPRsForWavesPerEU: 18
; NumVGPRsForWavesPerEU: 8
; Occupancy: 16
; WaveLimiterHint : 0
; COMPUTE_PGM_RSRC2:SCRATCH_EN: 0
; COMPUTE_PGM_RSRC2:USER_SGPR: 13
; COMPUTE_PGM_RSRC2:TRAP_HANDLER: 0
; COMPUTE_PGM_RSRC2:TGID_X_EN: 1
; COMPUTE_PGM_RSRC2:TGID_Y_EN: 1
; COMPUTE_PGM_RSRC2:TGID_Z_EN: 1
; COMPUTE_PGM_RSRC2:TIDIG_COMP_CNT: 1
	.section	.text._ZL40rocblas_copy_triangular_syrk_herk_kernelILb1ELb0ELb1E19rocblas_complex_numIdEPKPS1_Li16ELi16EEviT3_ilPT2_i,"axG",@progbits,_ZL40rocblas_copy_triangular_syrk_herk_kernelILb1ELb0ELb1E19rocblas_complex_numIdEPKPS1_Li16ELi16EEviT3_ilPT2_i,comdat
	.globl	_ZL40rocblas_copy_triangular_syrk_herk_kernelILb1ELb0ELb1E19rocblas_complex_numIdEPKPS1_Li16ELi16EEviT3_ilPT2_i ; -- Begin function _ZL40rocblas_copy_triangular_syrk_herk_kernelILb1ELb0ELb1E19rocblas_complex_numIdEPKPS1_Li16ELi16EEviT3_ilPT2_i
	.p2align	8
	.type	_ZL40rocblas_copy_triangular_syrk_herk_kernelILb1ELb0ELb1E19rocblas_complex_numIdEPKPS1_Li16ELi16EEviT3_ilPT2_i,@function
_ZL40rocblas_copy_triangular_syrk_herk_kernelILb1ELb0ELb1E19rocblas_complex_numIdEPKPS1_Li16ELi16EEviT3_ilPT2_i: ; @_ZL40rocblas_copy_triangular_syrk_herk_kernelILb1ELb0ELb1E19rocblas_complex_numIdEPKPS1_Li16ELi16EEviT3_ilPT2_i
; %bb.0:
	s_clause 0x1
	s_load_b32 s2, s[0:1], 0x3c
	s_load_b32 s3, s[0:1], 0x0
	v_bfe_u32 v1, v0, 10, 10
	v_and_b32_e32 v4, 0x3ff, v0
	s_waitcnt lgkmcnt(0)
	s_lshr_b32 s5, s2, 16
	s_and_b32 s2, s2, 0xffff
	v_mad_u64_u32 v[2:3], null, s14, s5, v[1:2]
	v_mad_u64_u32 v[0:1], null, s13, s2, v[4:5]
	s_delay_alu instid0(VALU_DEP_1) | instskip(SKIP_1) | instid1(VALU_DEP_2)
	v_max_i32_e32 v1, v2, v0
	v_cmp_lt_i32_e64 s2, v2, v0
	v_cmp_gt_i32_e32 vcc_lo, s3, v1
	s_delay_alu instid0(VALU_DEP_2) | instskip(NEXT) | instid1(SALU_CYCLE_1)
	s_and_b32 s2, s2, vcc_lo
	s_and_saveexec_b32 s5, s2
	s_cbranch_execz .LBB45_2
; %bb.1:
	s_load_b64 s[6:7], s[0:1], 0x20
	s_add_i32 s2, s3, -1
	s_load_b64 s[8:9], s[0:1], 0x8
	s_mul_hi_i32 s5, s2, s3
	s_mul_i32 s2, s2, s3
	s_lshr_b32 s10, s5, 31
	s_mov_b32 s4, s15
	s_add_u32 s10, s2, s10
	s_load_b32 s2, s[0:1], 0x10
	s_addc_u32 s11, s5, 0
	v_ashrrev_i32_e32 v3, 31, v2
	s_ashr_i64 s[10:11], s[10:11], 1
	s_delay_alu instid0(SALU_CYCLE_1)
	s_mul_i32 s1, s11, s15
	s_mul_hi_u32 s5, s10, s15
	s_mul_i32 s0, s10, s15
	s_add_i32 s1, s5, s1
	s_mov_b32 s5, 0
	s_lshl_b64 s[0:1], s[0:1], 4
	v_lshlrev_b64 v[6:7], 4, v[2:3]
	s_waitcnt lgkmcnt(0)
	s_add_u32 s6, s6, s0
	s_addc_u32 s7, s7, s1
	s_lshl_b64 s[0:1], s[4:5], 3
	s_delay_alu instid0(SALU_CYCLE_1) | instskip(SKIP_3) | instid1(VALU_DEP_1)
	s_add_u32 s0, s8, s0
	s_addc_u32 s1, s9, s1
	s_load_b64 s[0:1], s[0:1], 0x0
	v_mad_i64_i32 v[4:5], null, v0, s2, 0
	v_lshlrev_b64 v[4:5], 4, v[4:5]
	s_waitcnt lgkmcnt(0)
	s_delay_alu instid0(VALU_DEP_1) | instskip(NEXT) | instid1(VALU_DEP_2)
	v_add_co_u32 v1, vcc_lo, s0, v4
	v_add_co_ci_u32_e32 v4, vcc_lo, s1, v5, vcc_lo
	s_delay_alu instid0(VALU_DEP_2) | instskip(NEXT) | instid1(VALU_DEP_2)
	v_add_co_u32 v3, vcc_lo, v1, v6
	v_add_co_ci_u32_e32 v4, vcc_lo, v4, v7, vcc_lo
	v_not_b32_e32 v1, v2
	global_load_b128 v[3:6], v[3:4], off
	v_lshl_add_u32 v7, s3, 1, v1
	s_delay_alu instid0(VALU_DEP_1) | instskip(NEXT) | instid1(VALU_DEP_1)
	v_mul_lo_u32 v2, v7, v2
	v_lshrrev_b32_e32 v7, 31, v2
	s_delay_alu instid0(VALU_DEP_1) | instskip(NEXT) | instid1(VALU_DEP_1)
	v_add_nc_u32_e32 v2, v2, v7
	v_ashrrev_i32_e32 v2, 1, v2
	s_delay_alu instid0(VALU_DEP_1) | instskip(NEXT) | instid1(VALU_DEP_1)
	v_add3_u32 v0, v0, v1, v2
	v_ashrrev_i32_e32 v1, 31, v0
	s_delay_alu instid0(VALU_DEP_1) | instskip(NEXT) | instid1(VALU_DEP_1)
	v_lshlrev_b64 v[0:1], 4, v[0:1]
	v_add_co_u32 v0, vcc_lo, s6, v0
	s_delay_alu instid0(VALU_DEP_2)
	v_add_co_ci_u32_e32 v1, vcc_lo, s7, v1, vcc_lo
	s_waitcnt vmcnt(0)
	global_store_b128 v[0:1], v[3:6], off
.LBB45_2:
	s_nop 0
	s_sendmsg sendmsg(MSG_DEALLOC_VGPRS)
	s_endpgm
	.section	.rodata,"a",@progbits
	.p2align	6, 0x0
	.amdhsa_kernel _ZL40rocblas_copy_triangular_syrk_herk_kernelILb1ELb0ELb1E19rocblas_complex_numIdEPKPS1_Li16ELi16EEviT3_ilPT2_i
		.amdhsa_group_segment_fixed_size 0
		.amdhsa_private_segment_fixed_size 0
		.amdhsa_kernarg_size 304
		.amdhsa_user_sgpr_count 13
		.amdhsa_user_sgpr_dispatch_ptr 0
		.amdhsa_user_sgpr_queue_ptr 0
		.amdhsa_user_sgpr_kernarg_segment_ptr 1
		.amdhsa_user_sgpr_dispatch_id 0
		.amdhsa_user_sgpr_private_segment_size 0
		.amdhsa_wavefront_size32 1
		.amdhsa_uses_dynamic_stack 0
		.amdhsa_enable_private_segment 0
		.amdhsa_system_sgpr_workgroup_id_x 1
		.amdhsa_system_sgpr_workgroup_id_y 1
		.amdhsa_system_sgpr_workgroup_id_z 1
		.amdhsa_system_sgpr_workgroup_info 0
		.amdhsa_system_vgpr_workitem_id 1
		.amdhsa_next_free_vgpr 8
		.amdhsa_next_free_sgpr 16
		.amdhsa_reserve_vcc 1
		.amdhsa_float_round_mode_32 0
		.amdhsa_float_round_mode_16_64 0
		.amdhsa_float_denorm_mode_32 3
		.amdhsa_float_denorm_mode_16_64 3
		.amdhsa_dx10_clamp 1
		.amdhsa_ieee_mode 1
		.amdhsa_fp16_overflow 0
		.amdhsa_workgroup_processor_mode 1
		.amdhsa_memory_ordered 1
		.amdhsa_forward_progress 0
		.amdhsa_shared_vgpr_count 0
		.amdhsa_exception_fp_ieee_invalid_op 0
		.amdhsa_exception_fp_denorm_src 0
		.amdhsa_exception_fp_ieee_div_zero 0
		.amdhsa_exception_fp_ieee_overflow 0
		.amdhsa_exception_fp_ieee_underflow 0
		.amdhsa_exception_fp_ieee_inexact 0
		.amdhsa_exception_int_div_zero 0
	.end_amdhsa_kernel
	.section	.text._ZL40rocblas_copy_triangular_syrk_herk_kernelILb1ELb0ELb1E19rocblas_complex_numIdEPKPS1_Li16ELi16EEviT3_ilPT2_i,"axG",@progbits,_ZL40rocblas_copy_triangular_syrk_herk_kernelILb1ELb0ELb1E19rocblas_complex_numIdEPKPS1_Li16ELi16EEviT3_ilPT2_i,comdat
.Lfunc_end45:
	.size	_ZL40rocblas_copy_triangular_syrk_herk_kernelILb1ELb0ELb1E19rocblas_complex_numIdEPKPS1_Li16ELi16EEviT3_ilPT2_i, .Lfunc_end45-_ZL40rocblas_copy_triangular_syrk_herk_kernelILb1ELb0ELb1E19rocblas_complex_numIdEPKPS1_Li16ELi16EEviT3_ilPT2_i
                                        ; -- End function
	.section	.AMDGPU.csdata,"",@progbits
; Kernel info:
; codeLenInByte = 404
; NumSgprs: 18
; NumVgprs: 8
; ScratchSize: 0
; MemoryBound: 0
; FloatMode: 240
; IeeeMode: 1
; LDSByteSize: 0 bytes/workgroup (compile time only)
; SGPRBlocks: 2
; VGPRBlocks: 0
; NumSGPRsForWavesPerEU: 18
; NumVGPRsForWavesPerEU: 8
; Occupancy: 16
; WaveLimiterHint : 0
; COMPUTE_PGM_RSRC2:SCRATCH_EN: 0
; COMPUTE_PGM_RSRC2:USER_SGPR: 13
; COMPUTE_PGM_RSRC2:TRAP_HANDLER: 0
; COMPUTE_PGM_RSRC2:TGID_X_EN: 1
; COMPUTE_PGM_RSRC2:TGID_Y_EN: 1
; COMPUTE_PGM_RSRC2:TGID_Z_EN: 1
; COMPUTE_PGM_RSRC2:TIDIG_COMP_CNT: 1
	.section	.text._ZL40rocblas_copy_triangular_syrk_herk_kernelILb0ELb1ELb1E19rocblas_complex_numIdEPKPS1_Li16ELi16EEviT3_ilPT2_i,"axG",@progbits,_ZL40rocblas_copy_triangular_syrk_herk_kernelILb0ELb1ELb1E19rocblas_complex_numIdEPKPS1_Li16ELi16EEviT3_ilPT2_i,comdat
	.globl	_ZL40rocblas_copy_triangular_syrk_herk_kernelILb0ELb1ELb1E19rocblas_complex_numIdEPKPS1_Li16ELi16EEviT3_ilPT2_i ; -- Begin function _ZL40rocblas_copy_triangular_syrk_herk_kernelILb0ELb1ELb1E19rocblas_complex_numIdEPKPS1_Li16ELi16EEviT3_ilPT2_i
	.p2align	8
	.type	_ZL40rocblas_copy_triangular_syrk_herk_kernelILb0ELb1ELb1E19rocblas_complex_numIdEPKPS1_Li16ELi16EEviT3_ilPT2_i,@function
_ZL40rocblas_copy_triangular_syrk_herk_kernelILb0ELb1ELb1E19rocblas_complex_numIdEPKPS1_Li16ELi16EEviT3_ilPT2_i: ; @_ZL40rocblas_copy_triangular_syrk_herk_kernelILb0ELb1ELb1E19rocblas_complex_numIdEPKPS1_Li16ELi16EEviT3_ilPT2_i
; %bb.0:
	s_clause 0x2
	s_load_b64 s[2:3], s[0:1], 0x8
	s_load_b32 s10, s[0:1], 0x3c
	s_load_b32 s9, s[0:1], 0x0
	s_mov_b32 s6, s15
	s_mov_b32 s7, 0
	v_bfe_u32 v2, v0, 10, 10
	s_lshl_b64 s[4:5], s[6:7], 3
	v_and_b32_e32 v4, 0x3ff, v0
	s_load_b32 s8, s[0:1], 0x10
	s_waitcnt lgkmcnt(0)
	s_add_u32 s2, s2, s4
	s_addc_u32 s3, s3, s5
	s_lshr_b32 s7, s10, 16
	s_load_b64 s[4:5], s[2:3], 0x0
	s_and_b32 s2, s10, 0xffff
	v_mad_u64_u32 v[0:1], null, s14, s7, v[2:3]
	v_mad_u64_u32 v[2:3], null, s13, s2, v[4:5]
	s_delay_alu instid0(VALU_DEP_2) | instskip(SKIP_1) | instid1(VALU_DEP_3)
	v_cmp_gt_i32_e32 vcc_lo, s9, v0
	v_ashrrev_i32_e32 v1, 31, v0
	v_cmp_gt_i32_e64 s2, s9, v2
	v_cmp_gt_i32_e64 s3, v0, v2
	s_delay_alu instid0(VALU_DEP_2)
	s_and_b32 s2, s2, vcc_lo
	s_delay_alu instid0(VALU_DEP_1) | instid1(SALU_CYCLE_1)
	s_and_b32 s3, s2, s3
	s_delay_alu instid0(SALU_CYCLE_1)
	s_and_saveexec_b32 s2, s3
	s_cbranch_execz .LBB46_2
; %bb.1:
	v_add_nc_u32_e32 v3, -1, v0
	s_load_b64 s[0:1], s[0:1], 0x20
	s_add_i32 s3, s9, -1
	v_mad_i64_i32 v[7:8], null, v2, s8, 0
	s_delay_alu instid0(VALU_DEP_2)
	v_mul_lo_u32 v3, v3, v0
	s_mul_hi_i32 s7, s3, s9
	s_mul_i32 s3, s3, s9
	s_lshr_b32 s9, s7, 31
	v_lshlrev_b64 v[9:10], 4, v[0:1]
	s_add_u32 s10, s3, s9
	s_addc_u32 s11, s7, 0
	v_lshlrev_b64 v[7:8], 4, v[7:8]
	v_lshrrev_b32_e32 v4, 31, v3
	s_ashr_i64 s[10:11], s[10:11], 1
	s_delay_alu instid0(SALU_CYCLE_1) | instskip(SKIP_1) | instid1(VALU_DEP_1)
	s_mul_i32 s3, s11, s6
	s_mul_hi_u32 s7, s10, s6
	v_add_nc_u32_e32 v3, v3, v4
	s_mul_i32 s6, s10, s6
	s_add_i32 s7, s7, s3
	s_delay_alu instid0(SALU_CYCLE_1) | instskip(NEXT) | instid1(VALU_DEP_1)
	s_lshl_b64 s[6:7], s[6:7], 4
	v_ashrrev_i32_e32 v3, 1, v3
	s_waitcnt lgkmcnt(0)
	s_add_u32 s0, s0, s6
	s_addc_u32 s1, s1, s7
	s_delay_alu instid0(VALU_DEP_1) | instskip(NEXT) | instid1(VALU_DEP_1)
	v_add_nc_u32_e32 v3, v3, v2
	v_ashrrev_i32_e32 v4, 31, v3
	s_delay_alu instid0(VALU_DEP_1) | instskip(NEXT) | instid1(VALU_DEP_1)
	v_lshlrev_b64 v[3:4], 4, v[3:4]
	v_add_co_u32 v3, s0, s0, v3
	s_delay_alu instid0(VALU_DEP_1) | instskip(SKIP_1) | instid1(VALU_DEP_1)
	v_add_co_ci_u32_e64 v4, s0, s1, v4, s0
	v_add_co_u32 v7, s0, s4, v7
	v_add_co_ci_u32_e64 v8, s0, s5, v8, s0
	global_load_b128 v[3:6], v[3:4], off
	v_add_co_u32 v7, s0, v7, v9
	s_delay_alu instid0(VALU_DEP_1)
	v_add_co_ci_u32_e64 v8, s0, v8, v10, s0
	s_waitcnt vmcnt(0)
	global_store_b128 v[7:8], v[3:6], off
.LBB46_2:
	s_or_b32 exec_lo, exec_lo, s2
	v_cmp_eq_u32_e64 s0, v0, v2
	s_delay_alu instid0(VALU_DEP_1) | instskip(NEXT) | instid1(SALU_CYCLE_1)
	s_and_b32 s0, vcc_lo, s0
	s_and_saveexec_b32 s1, s0
	s_cbranch_execz .LBB46_4
; %bb.3:
	v_mad_i64_i32 v[2:3], null, v0, s8, v[0:1]
	s_delay_alu instid0(VALU_DEP_1) | instskip(SKIP_1) | instid1(VALU_DEP_1)
	v_lshlrev_b64 v[0:1], 4, v[2:3]
	v_mov_b32_e32 v2, 0
	v_mov_b32_e32 v3, v2
	s_waitcnt lgkmcnt(0)
	s_delay_alu instid0(VALU_DEP_3) | instskip(NEXT) | instid1(VALU_DEP_4)
	v_add_co_u32 v0, vcc_lo, s4, v0
	v_add_co_ci_u32_e32 v1, vcc_lo, s5, v1, vcc_lo
	global_store_b64 v[0:1], v[2:3], off offset:8
.LBB46_4:
	s_nop 0
	s_sendmsg sendmsg(MSG_DEALLOC_VGPRS)
	s_endpgm
	.section	.rodata,"a",@progbits
	.p2align	6, 0x0
	.amdhsa_kernel _ZL40rocblas_copy_triangular_syrk_herk_kernelILb0ELb1ELb1E19rocblas_complex_numIdEPKPS1_Li16ELi16EEviT3_ilPT2_i
		.amdhsa_group_segment_fixed_size 0
		.amdhsa_private_segment_fixed_size 0
		.amdhsa_kernarg_size 304
		.amdhsa_user_sgpr_count 13
		.amdhsa_user_sgpr_dispatch_ptr 0
		.amdhsa_user_sgpr_queue_ptr 0
		.amdhsa_user_sgpr_kernarg_segment_ptr 1
		.amdhsa_user_sgpr_dispatch_id 0
		.amdhsa_user_sgpr_private_segment_size 0
		.amdhsa_wavefront_size32 1
		.amdhsa_uses_dynamic_stack 0
		.amdhsa_enable_private_segment 0
		.amdhsa_system_sgpr_workgroup_id_x 1
		.amdhsa_system_sgpr_workgroup_id_y 1
		.amdhsa_system_sgpr_workgroup_id_z 1
		.amdhsa_system_sgpr_workgroup_info 0
		.amdhsa_system_vgpr_workitem_id 1
		.amdhsa_next_free_vgpr 11
		.amdhsa_next_free_sgpr 16
		.amdhsa_reserve_vcc 1
		.amdhsa_float_round_mode_32 0
		.amdhsa_float_round_mode_16_64 0
		.amdhsa_float_denorm_mode_32 3
		.amdhsa_float_denorm_mode_16_64 3
		.amdhsa_dx10_clamp 1
		.amdhsa_ieee_mode 1
		.amdhsa_fp16_overflow 0
		.amdhsa_workgroup_processor_mode 1
		.amdhsa_memory_ordered 1
		.amdhsa_forward_progress 0
		.amdhsa_shared_vgpr_count 0
		.amdhsa_exception_fp_ieee_invalid_op 0
		.amdhsa_exception_fp_denorm_src 0
		.amdhsa_exception_fp_ieee_div_zero 0
		.amdhsa_exception_fp_ieee_overflow 0
		.amdhsa_exception_fp_ieee_underflow 0
		.amdhsa_exception_fp_ieee_inexact 0
		.amdhsa_exception_int_div_zero 0
	.end_amdhsa_kernel
	.section	.text._ZL40rocblas_copy_triangular_syrk_herk_kernelILb0ELb1ELb1E19rocblas_complex_numIdEPKPS1_Li16ELi16EEviT3_ilPT2_i,"axG",@progbits,_ZL40rocblas_copy_triangular_syrk_herk_kernelILb0ELb1ELb1E19rocblas_complex_numIdEPKPS1_Li16ELi16EEviT3_ilPT2_i,comdat
.Lfunc_end46:
	.size	_ZL40rocblas_copy_triangular_syrk_herk_kernelILb0ELb1ELb1E19rocblas_complex_numIdEPKPS1_Li16ELi16EEviT3_ilPT2_i, .Lfunc_end46-_ZL40rocblas_copy_triangular_syrk_herk_kernelILb0ELb1ELb1E19rocblas_complex_numIdEPKPS1_Li16ELi16EEviT3_ilPT2_i
                                        ; -- End function
	.section	.AMDGPU.csdata,"",@progbits
; Kernel info:
; codeLenInByte = 492
; NumSgprs: 18
; NumVgprs: 11
; ScratchSize: 0
; MemoryBound: 0
; FloatMode: 240
; IeeeMode: 1
; LDSByteSize: 0 bytes/workgroup (compile time only)
; SGPRBlocks: 2
; VGPRBlocks: 1
; NumSGPRsForWavesPerEU: 18
; NumVGPRsForWavesPerEU: 11
; Occupancy: 16
; WaveLimiterHint : 1
; COMPUTE_PGM_RSRC2:SCRATCH_EN: 0
; COMPUTE_PGM_RSRC2:USER_SGPR: 13
; COMPUTE_PGM_RSRC2:TRAP_HANDLER: 0
; COMPUTE_PGM_RSRC2:TGID_X_EN: 1
; COMPUTE_PGM_RSRC2:TGID_Y_EN: 1
; COMPUTE_PGM_RSRC2:TGID_Z_EN: 1
; COMPUTE_PGM_RSRC2:TIDIG_COMP_CNT: 1
	.section	.text._ZL40rocblas_copy_triangular_syrk_herk_kernelILb0ELb0ELb1E19rocblas_complex_numIdEPKPS1_Li16ELi16EEviT3_ilPT2_i,"axG",@progbits,_ZL40rocblas_copy_triangular_syrk_herk_kernelILb0ELb0ELb1E19rocblas_complex_numIdEPKPS1_Li16ELi16EEviT3_ilPT2_i,comdat
	.globl	_ZL40rocblas_copy_triangular_syrk_herk_kernelILb0ELb0ELb1E19rocblas_complex_numIdEPKPS1_Li16ELi16EEviT3_ilPT2_i ; -- Begin function _ZL40rocblas_copy_triangular_syrk_herk_kernelILb0ELb0ELb1E19rocblas_complex_numIdEPKPS1_Li16ELi16EEviT3_ilPT2_i
	.p2align	8
	.type	_ZL40rocblas_copy_triangular_syrk_herk_kernelILb0ELb0ELb1E19rocblas_complex_numIdEPKPS1_Li16ELi16EEviT3_ilPT2_i,@function
_ZL40rocblas_copy_triangular_syrk_herk_kernelILb0ELb0ELb1E19rocblas_complex_numIdEPKPS1_Li16ELi16EEviT3_ilPT2_i: ; @_ZL40rocblas_copy_triangular_syrk_herk_kernelILb0ELb0ELb1E19rocblas_complex_numIdEPKPS1_Li16ELi16EEviT3_ilPT2_i
; %bb.0:
	s_clause 0x2
	s_load_b64 s[2:3], s[0:1], 0x8
	s_load_b32 s10, s[0:1], 0x3c
	s_load_b32 s9, s[0:1], 0x0
	s_mov_b32 s6, s15
	s_mov_b32 s7, 0
	v_bfe_u32 v4, v0, 10, 10
	s_lshl_b64 s[4:5], s[6:7], 3
	v_and_b32_e32 v0, 0x3ff, v0
	s_load_b32 s8, s[0:1], 0x10
	s_waitcnt lgkmcnt(0)
	s_add_u32 s2, s2, s4
	s_addc_u32 s3, s3, s5
	s_lshr_b32 s7, s10, 16
	s_load_b64 s[4:5], s[2:3], 0x0
	s_and_b32 s10, s10, 0xffff
	s_delay_alu instid0(SALU_CYCLE_1) | instskip(SKIP_1) | instid1(VALU_DEP_2)
	v_mad_u64_u32 v[2:3], null, s13, s10, v[0:1]
	v_mad_u64_u32 v[0:1], null, s14, s7, v[4:5]
	v_cmp_gt_i32_e64 s2, s9, v2
	s_delay_alu instid0(VALU_DEP_2) | instskip(SKIP_2) | instid1(VALU_DEP_3)
	v_cmp_lt_i32_e64 s3, v0, v2
	v_cmp_gt_i32_e32 vcc_lo, s9, v0
	v_ashrrev_i32_e32 v1, 31, v0
	s_and_b32 s2, s2, s3
	s_delay_alu instid0(SALU_CYCLE_1) | instskip(NEXT) | instid1(SALU_CYCLE_1)
	s_and_b32 s3, vcc_lo, s2
	s_and_saveexec_b32 s2, s3
	s_cbranch_execz .LBB47_2
; %bb.1:
	v_not_b32_e32 v3, v0
	s_load_b64 s[0:1], s[0:1], 0x20
	s_add_i32 s3, s9, -1
	v_mad_i64_i32 v[7:8], null, v2, s8, 0
	s_delay_alu instid0(VALU_DEP_2)
	v_lshl_add_u32 v4, s9, 1, v3
	s_mul_hi_i32 s7, s3, s9
	s_mul_i32 s3, s3, s9
	s_lshr_b32 s9, s7, 31
	v_lshlrev_b64 v[9:10], 4, v[0:1]
	v_mul_lo_u32 v4, v4, v0
	s_add_u32 s10, s3, s9
	s_addc_u32 s11, s7, 0
	v_lshlrev_b64 v[7:8], 4, v[7:8]
	s_ashr_i64 s[10:11], s[10:11], 1
	s_delay_alu instid0(SALU_CYCLE_1) | instskip(SKIP_1) | instid1(VALU_DEP_2)
	s_mul_i32 s3, s11, s6
	s_mul_hi_u32 s7, s10, s6
	v_lshrrev_b32_e32 v5, 31, v4
	s_mul_i32 s6, s10, s6
	s_add_i32 s7, s7, s3
	s_delay_alu instid0(SALU_CYCLE_1) | instskip(NEXT) | instid1(VALU_DEP_1)
	s_lshl_b64 s[6:7], s[6:7], 4
	v_add_nc_u32_e32 v4, v4, v5
	s_waitcnt lgkmcnt(0)
	s_add_u32 s0, s0, s6
	s_addc_u32 s1, s1, s7
	s_delay_alu instid0(VALU_DEP_1) | instskip(NEXT) | instid1(VALU_DEP_1)
	v_ashrrev_i32_e32 v4, 1, v4
	v_add3_u32 v3, v2, v3, v4
	s_delay_alu instid0(VALU_DEP_1) | instskip(NEXT) | instid1(VALU_DEP_1)
	v_ashrrev_i32_e32 v4, 31, v3
	v_lshlrev_b64 v[3:4], 4, v[3:4]
	s_delay_alu instid0(VALU_DEP_1) | instskip(NEXT) | instid1(VALU_DEP_1)
	v_add_co_u32 v3, s0, s0, v3
	v_add_co_ci_u32_e64 v4, s0, s1, v4, s0
	v_add_co_u32 v7, s0, s4, v7
	s_delay_alu instid0(VALU_DEP_1) | instskip(SKIP_2) | instid1(VALU_DEP_1)
	v_add_co_ci_u32_e64 v8, s0, s5, v8, s0
	global_load_b128 v[3:6], v[3:4], off
	v_add_co_u32 v7, s0, v7, v9
	v_add_co_ci_u32_e64 v8, s0, v8, v10, s0
	s_waitcnt vmcnt(0)
	global_store_b128 v[7:8], v[3:6], off
.LBB47_2:
	s_or_b32 exec_lo, exec_lo, s2
	v_cmp_eq_u32_e64 s0, v0, v2
	s_delay_alu instid0(VALU_DEP_1) | instskip(NEXT) | instid1(SALU_CYCLE_1)
	s_and_b32 s0, vcc_lo, s0
	s_and_saveexec_b32 s1, s0
	s_cbranch_execz .LBB47_4
; %bb.3:
	v_mad_i64_i32 v[2:3], null, v0, s8, v[0:1]
	s_delay_alu instid0(VALU_DEP_1) | instskip(SKIP_1) | instid1(VALU_DEP_1)
	v_lshlrev_b64 v[0:1], 4, v[2:3]
	v_mov_b32_e32 v2, 0
	v_mov_b32_e32 v3, v2
	s_waitcnt lgkmcnt(0)
	s_delay_alu instid0(VALU_DEP_3) | instskip(NEXT) | instid1(VALU_DEP_4)
	v_add_co_u32 v0, vcc_lo, s4, v0
	v_add_co_ci_u32_e32 v1, vcc_lo, s5, v1, vcc_lo
	global_store_b64 v[0:1], v[2:3], off offset:8
.LBB47_4:
	s_nop 0
	s_sendmsg sendmsg(MSG_DEALLOC_VGPRS)
	s_endpgm
	.section	.rodata,"a",@progbits
	.p2align	6, 0x0
	.amdhsa_kernel _ZL40rocblas_copy_triangular_syrk_herk_kernelILb0ELb0ELb1E19rocblas_complex_numIdEPKPS1_Li16ELi16EEviT3_ilPT2_i
		.amdhsa_group_segment_fixed_size 0
		.amdhsa_private_segment_fixed_size 0
		.amdhsa_kernarg_size 304
		.amdhsa_user_sgpr_count 13
		.amdhsa_user_sgpr_dispatch_ptr 0
		.amdhsa_user_sgpr_queue_ptr 0
		.amdhsa_user_sgpr_kernarg_segment_ptr 1
		.amdhsa_user_sgpr_dispatch_id 0
		.amdhsa_user_sgpr_private_segment_size 0
		.amdhsa_wavefront_size32 1
		.amdhsa_uses_dynamic_stack 0
		.amdhsa_enable_private_segment 0
		.amdhsa_system_sgpr_workgroup_id_x 1
		.amdhsa_system_sgpr_workgroup_id_y 1
		.amdhsa_system_sgpr_workgroup_id_z 1
		.amdhsa_system_sgpr_workgroup_info 0
		.amdhsa_system_vgpr_workitem_id 1
		.amdhsa_next_free_vgpr 11
		.amdhsa_next_free_sgpr 16
		.amdhsa_reserve_vcc 1
		.amdhsa_float_round_mode_32 0
		.amdhsa_float_round_mode_16_64 0
		.amdhsa_float_denorm_mode_32 3
		.amdhsa_float_denorm_mode_16_64 3
		.amdhsa_dx10_clamp 1
		.amdhsa_ieee_mode 1
		.amdhsa_fp16_overflow 0
		.amdhsa_workgroup_processor_mode 1
		.amdhsa_memory_ordered 1
		.amdhsa_forward_progress 0
		.amdhsa_shared_vgpr_count 0
		.amdhsa_exception_fp_ieee_invalid_op 0
		.amdhsa_exception_fp_denorm_src 0
		.amdhsa_exception_fp_ieee_div_zero 0
		.amdhsa_exception_fp_ieee_overflow 0
		.amdhsa_exception_fp_ieee_underflow 0
		.amdhsa_exception_fp_ieee_inexact 0
		.amdhsa_exception_int_div_zero 0
	.end_amdhsa_kernel
	.section	.text._ZL40rocblas_copy_triangular_syrk_herk_kernelILb0ELb0ELb1E19rocblas_complex_numIdEPKPS1_Li16ELi16EEviT3_ilPT2_i,"axG",@progbits,_ZL40rocblas_copy_triangular_syrk_herk_kernelILb0ELb0ELb1E19rocblas_complex_numIdEPKPS1_Li16ELi16EEviT3_ilPT2_i,comdat
.Lfunc_end47:
	.size	_ZL40rocblas_copy_triangular_syrk_herk_kernelILb0ELb0ELb1E19rocblas_complex_numIdEPKPS1_Li16ELi16EEviT3_ilPT2_i, .Lfunc_end47-_ZL40rocblas_copy_triangular_syrk_herk_kernelILb0ELb0ELb1E19rocblas_complex_numIdEPKPS1_Li16ELi16EEviT3_ilPT2_i
                                        ; -- End function
	.section	.AMDGPU.csdata,"",@progbits
; Kernel info:
; codeLenInByte = 500
; NumSgprs: 18
; NumVgprs: 11
; ScratchSize: 0
; MemoryBound: 0
; FloatMode: 240
; IeeeMode: 1
; LDSByteSize: 0 bytes/workgroup (compile time only)
; SGPRBlocks: 2
; VGPRBlocks: 1
; NumSGPRsForWavesPerEU: 18
; NumVGPRsForWavesPerEU: 11
; Occupancy: 16
; WaveLimiterHint : 1
; COMPUTE_PGM_RSRC2:SCRATCH_EN: 0
; COMPUTE_PGM_RSRC2:USER_SGPR: 13
; COMPUTE_PGM_RSRC2:TRAP_HANDLER: 0
; COMPUTE_PGM_RSRC2:TGID_X_EN: 1
; COMPUTE_PGM_RSRC2:TGID_Y_EN: 1
; COMPUTE_PGM_RSRC2:TGID_Z_EN: 1
; COMPUTE_PGM_RSRC2:TIDIG_COMP_CNT: 1
	.text
	.p2alignl 7, 3214868480
	.fill 96, 4, 3214868480
	.type	__hip_cuid_26bfab43acd1fc2e,@object ; @__hip_cuid_26bfab43acd1fc2e
	.section	.bss,"aw",@nobits
	.globl	__hip_cuid_26bfab43acd1fc2e
__hip_cuid_26bfab43acd1fc2e:
	.byte	0                               ; 0x0
	.size	__hip_cuid_26bfab43acd1fc2e, 1

	.ident	"AMD clang version 19.0.0git (https://github.com/RadeonOpenCompute/llvm-project roc-6.4.0 25133 c7fe45cf4b819c5991fe208aaa96edf142730f1d)"
	.section	".note.GNU-stack","",@progbits
	.addrsig
	.addrsig_sym __hip_cuid_26bfab43acd1fc2e
	.amdgpu_metadata
---
amdhsa.kernels:
  - .args:
      - .offset:         0
        .size:           4
        .value_kind:     by_value
      - .address_space:  global
        .offset:         8
        .size:           8
        .value_kind:     global_buffer
      - .offset:         16
        .size:           4
        .value_kind:     by_value
      - .offset:         24
        .size:           8
        .value_kind:     by_value
      - .address_space:  global
        .offset:         32
        .size:           8
        .value_kind:     global_buffer
      - .offset:         40
        .size:           4
        .value_kind:     by_value
      - .offset:         48
        .size:           4
        .value_kind:     hidden_block_count_x
      - .offset:         52
        .size:           4
        .value_kind:     hidden_block_count_y
      - .offset:         56
        .size:           4
        .value_kind:     hidden_block_count_z
      - .offset:         60
        .size:           2
        .value_kind:     hidden_group_size_x
      - .offset:         62
        .size:           2
        .value_kind:     hidden_group_size_y
      - .offset:         64
        .size:           2
        .value_kind:     hidden_group_size_z
      - .offset:         66
        .size:           2
        .value_kind:     hidden_remainder_x
      - .offset:         68
        .size:           2
        .value_kind:     hidden_remainder_y
      - .offset:         70
        .size:           2
        .value_kind:     hidden_remainder_z
      - .offset:         88
        .size:           8
        .value_kind:     hidden_global_offset_x
      - .offset:         96
        .size:           8
        .value_kind:     hidden_global_offset_y
      - .offset:         104
        .size:           8
        .value_kind:     hidden_global_offset_z
      - .offset:         112
        .size:           2
        .value_kind:     hidden_grid_dims
    .group_segment_fixed_size: 0
    .kernarg_segment_align: 8
    .kernarg_segment_size: 304
    .language:       OpenCL C
    .language_version:
      - 2
      - 0
    .max_flat_workgroup_size: 256
    .name:           _ZL40rocblas_copy_triangular_syrk_herk_kernelILb1ELb1ELb0EfPfLi16ELi16EEviT3_ilPT2_i
    .private_segment_fixed_size: 0
    .sgpr_count:     18
    .sgpr_spill_count: 0
    .symbol:         _ZL40rocblas_copy_triangular_syrk_herk_kernelILb1ELb1ELb0EfPfLi16ELi16EEviT3_ilPT2_i.kd
    .uniform_work_group_size: 1
    .uses_dynamic_stack: false
    .vgpr_count:     8
    .vgpr_spill_count: 0
    .wavefront_size: 32
    .workgroup_processor_mode: 1
  - .args:
      - .offset:         0
        .size:           4
        .value_kind:     by_value
      - .address_space:  global
        .offset:         8
        .size:           8
        .value_kind:     global_buffer
      - .offset:         16
        .size:           4
        .value_kind:     by_value
      - .offset:         24
        .size:           8
        .value_kind:     by_value
      - .address_space:  global
        .offset:         32
        .size:           8
        .value_kind:     global_buffer
      - .offset:         40
        .size:           4
        .value_kind:     by_value
      - .offset:         48
        .size:           4
        .value_kind:     hidden_block_count_x
      - .offset:         52
        .size:           4
        .value_kind:     hidden_block_count_y
      - .offset:         56
        .size:           4
        .value_kind:     hidden_block_count_z
      - .offset:         60
        .size:           2
        .value_kind:     hidden_group_size_x
      - .offset:         62
        .size:           2
        .value_kind:     hidden_group_size_y
      - .offset:         64
        .size:           2
        .value_kind:     hidden_group_size_z
      - .offset:         66
        .size:           2
        .value_kind:     hidden_remainder_x
      - .offset:         68
        .size:           2
        .value_kind:     hidden_remainder_y
      - .offset:         70
        .size:           2
        .value_kind:     hidden_remainder_z
      - .offset:         88
        .size:           8
        .value_kind:     hidden_global_offset_x
      - .offset:         96
        .size:           8
        .value_kind:     hidden_global_offset_y
      - .offset:         104
        .size:           8
        .value_kind:     hidden_global_offset_z
      - .offset:         112
        .size:           2
        .value_kind:     hidden_grid_dims
    .group_segment_fixed_size: 0
    .kernarg_segment_align: 8
    .kernarg_segment_size: 304
    .language:       OpenCL C
    .language_version:
      - 2
      - 0
    .max_flat_workgroup_size: 256
    .name:           _ZL40rocblas_copy_triangular_syrk_herk_kernelILb1ELb0ELb0EfPfLi16ELi16EEviT3_ilPT2_i
    .private_segment_fixed_size: 0
    .sgpr_count:     18
    .sgpr_spill_count: 0
    .symbol:         _ZL40rocblas_copy_triangular_syrk_herk_kernelILb1ELb0ELb0EfPfLi16ELi16EEviT3_ilPT2_i.kd
    .uniform_work_group_size: 1
    .uses_dynamic_stack: false
    .vgpr_count:     8
    .vgpr_spill_count: 0
    .wavefront_size: 32
    .workgroup_processor_mode: 1
  - .args:
      - .offset:         0
        .size:           4
        .value_kind:     by_value
      - .address_space:  global
        .offset:         8
        .size:           8
        .value_kind:     global_buffer
      - .offset:         16
        .size:           4
        .value_kind:     by_value
      - .offset:         24
        .size:           8
        .value_kind:     by_value
      - .address_space:  global
        .offset:         32
        .size:           8
        .value_kind:     global_buffer
      - .offset:         40
        .size:           4
        .value_kind:     by_value
      - .offset:         48
        .size:           4
        .value_kind:     hidden_block_count_x
      - .offset:         52
        .size:           4
        .value_kind:     hidden_block_count_y
      - .offset:         56
        .size:           4
        .value_kind:     hidden_block_count_z
      - .offset:         60
        .size:           2
        .value_kind:     hidden_group_size_x
      - .offset:         62
        .size:           2
        .value_kind:     hidden_group_size_y
      - .offset:         64
        .size:           2
        .value_kind:     hidden_group_size_z
      - .offset:         66
        .size:           2
        .value_kind:     hidden_remainder_x
      - .offset:         68
        .size:           2
        .value_kind:     hidden_remainder_y
      - .offset:         70
        .size:           2
        .value_kind:     hidden_remainder_z
      - .offset:         88
        .size:           8
        .value_kind:     hidden_global_offset_x
      - .offset:         96
        .size:           8
        .value_kind:     hidden_global_offset_y
      - .offset:         104
        .size:           8
        .value_kind:     hidden_global_offset_z
      - .offset:         112
        .size:           2
        .value_kind:     hidden_grid_dims
    .group_segment_fixed_size: 0
    .kernarg_segment_align: 8
    .kernarg_segment_size: 304
    .language:       OpenCL C
    .language_version:
      - 2
      - 0
    .max_flat_workgroup_size: 256
    .name:           _ZL40rocblas_copy_triangular_syrk_herk_kernelILb0ELb1ELb0EfPfLi16ELi16EEviT3_ilPT2_i
    .private_segment_fixed_size: 0
    .sgpr_count:     18
    .sgpr_spill_count: 0
    .symbol:         _ZL40rocblas_copy_triangular_syrk_herk_kernelILb0ELb1ELb0EfPfLi16ELi16EEviT3_ilPT2_i.kd
    .uniform_work_group_size: 1
    .uses_dynamic_stack: false
    .vgpr_count:     5
    .vgpr_spill_count: 0
    .wavefront_size: 32
    .workgroup_processor_mode: 1
  - .args:
      - .offset:         0
        .size:           4
        .value_kind:     by_value
      - .address_space:  global
        .offset:         8
        .size:           8
        .value_kind:     global_buffer
      - .offset:         16
        .size:           4
        .value_kind:     by_value
      - .offset:         24
        .size:           8
        .value_kind:     by_value
      - .address_space:  global
        .offset:         32
        .size:           8
        .value_kind:     global_buffer
      - .offset:         40
        .size:           4
        .value_kind:     by_value
      - .offset:         48
        .size:           4
        .value_kind:     hidden_block_count_x
      - .offset:         52
        .size:           4
        .value_kind:     hidden_block_count_y
      - .offset:         56
        .size:           4
        .value_kind:     hidden_block_count_z
      - .offset:         60
        .size:           2
        .value_kind:     hidden_group_size_x
      - .offset:         62
        .size:           2
        .value_kind:     hidden_group_size_y
      - .offset:         64
        .size:           2
        .value_kind:     hidden_group_size_z
      - .offset:         66
        .size:           2
        .value_kind:     hidden_remainder_x
      - .offset:         68
        .size:           2
        .value_kind:     hidden_remainder_y
      - .offset:         70
        .size:           2
        .value_kind:     hidden_remainder_z
      - .offset:         88
        .size:           8
        .value_kind:     hidden_global_offset_x
      - .offset:         96
        .size:           8
        .value_kind:     hidden_global_offset_y
      - .offset:         104
        .size:           8
        .value_kind:     hidden_global_offset_z
      - .offset:         112
        .size:           2
        .value_kind:     hidden_grid_dims
    .group_segment_fixed_size: 0
    .kernarg_segment_align: 8
    .kernarg_segment_size: 304
    .language:       OpenCL C
    .language_version:
      - 2
      - 0
    .max_flat_workgroup_size: 256
    .name:           _ZL40rocblas_copy_triangular_syrk_herk_kernelILb0ELb0ELb0EfPfLi16ELi16EEviT3_ilPT2_i
    .private_segment_fixed_size: 0
    .sgpr_count:     18
    .sgpr_spill_count: 0
    .symbol:         _ZL40rocblas_copy_triangular_syrk_herk_kernelILb0ELb0ELb0EfPfLi16ELi16EEviT3_ilPT2_i.kd
    .uniform_work_group_size: 1
    .uses_dynamic_stack: false
    .vgpr_count:     5
    .vgpr_spill_count: 0
    .wavefront_size: 32
    .workgroup_processor_mode: 1
  - .args:
      - .offset:         0
        .size:           4
        .value_kind:     by_value
      - .address_space:  global
        .offset:         8
        .size:           8
        .value_kind:     global_buffer
      - .offset:         16
        .size:           4
        .value_kind:     by_value
      - .offset:         24
        .size:           8
        .value_kind:     by_value
      - .address_space:  global
        .offset:         32
        .size:           8
        .value_kind:     global_buffer
      - .offset:         40
        .size:           4
        .value_kind:     by_value
      - .offset:         48
        .size:           4
        .value_kind:     hidden_block_count_x
      - .offset:         52
        .size:           4
        .value_kind:     hidden_block_count_y
      - .offset:         56
        .size:           4
        .value_kind:     hidden_block_count_z
      - .offset:         60
        .size:           2
        .value_kind:     hidden_group_size_x
      - .offset:         62
        .size:           2
        .value_kind:     hidden_group_size_y
      - .offset:         64
        .size:           2
        .value_kind:     hidden_group_size_z
      - .offset:         66
        .size:           2
        .value_kind:     hidden_remainder_x
      - .offset:         68
        .size:           2
        .value_kind:     hidden_remainder_y
      - .offset:         70
        .size:           2
        .value_kind:     hidden_remainder_z
      - .offset:         88
        .size:           8
        .value_kind:     hidden_global_offset_x
      - .offset:         96
        .size:           8
        .value_kind:     hidden_global_offset_y
      - .offset:         104
        .size:           8
        .value_kind:     hidden_global_offset_z
      - .offset:         112
        .size:           2
        .value_kind:     hidden_grid_dims
    .group_segment_fixed_size: 0
    .kernarg_segment_align: 8
    .kernarg_segment_size: 304
    .language:       OpenCL C
    .language_version:
      - 2
      - 0
    .max_flat_workgroup_size: 256
    .name:           _ZL40rocblas_copy_triangular_syrk_herk_kernelILb1ELb1ELb0EdPdLi16ELi16EEviT3_ilPT2_i
    .private_segment_fixed_size: 0
    .sgpr_count:     18
    .sgpr_spill_count: 0
    .symbol:         _ZL40rocblas_copy_triangular_syrk_herk_kernelILb1ELb1ELb0EdPdLi16ELi16EEviT3_ilPT2_i.kd
    .uniform_work_group_size: 1
    .uses_dynamic_stack: false
    .vgpr_count:     8
    .vgpr_spill_count: 0
    .wavefront_size: 32
    .workgroup_processor_mode: 1
  - .args:
      - .offset:         0
        .size:           4
        .value_kind:     by_value
      - .address_space:  global
        .offset:         8
        .size:           8
        .value_kind:     global_buffer
      - .offset:         16
        .size:           4
        .value_kind:     by_value
      - .offset:         24
        .size:           8
        .value_kind:     by_value
      - .address_space:  global
        .offset:         32
        .size:           8
        .value_kind:     global_buffer
      - .offset:         40
        .size:           4
        .value_kind:     by_value
      - .offset:         48
        .size:           4
        .value_kind:     hidden_block_count_x
      - .offset:         52
        .size:           4
        .value_kind:     hidden_block_count_y
      - .offset:         56
        .size:           4
        .value_kind:     hidden_block_count_z
      - .offset:         60
        .size:           2
        .value_kind:     hidden_group_size_x
      - .offset:         62
        .size:           2
        .value_kind:     hidden_group_size_y
      - .offset:         64
        .size:           2
        .value_kind:     hidden_group_size_z
      - .offset:         66
        .size:           2
        .value_kind:     hidden_remainder_x
      - .offset:         68
        .size:           2
        .value_kind:     hidden_remainder_y
      - .offset:         70
        .size:           2
        .value_kind:     hidden_remainder_z
      - .offset:         88
        .size:           8
        .value_kind:     hidden_global_offset_x
      - .offset:         96
        .size:           8
        .value_kind:     hidden_global_offset_y
      - .offset:         104
        .size:           8
        .value_kind:     hidden_global_offset_z
      - .offset:         112
        .size:           2
        .value_kind:     hidden_grid_dims
    .group_segment_fixed_size: 0
    .kernarg_segment_align: 8
    .kernarg_segment_size: 304
    .language:       OpenCL C
    .language_version:
      - 2
      - 0
    .max_flat_workgroup_size: 256
    .name:           _ZL40rocblas_copy_triangular_syrk_herk_kernelILb1ELb0ELb0EdPdLi16ELi16EEviT3_ilPT2_i
    .private_segment_fixed_size: 0
    .sgpr_count:     18
    .sgpr_spill_count: 0
    .symbol:         _ZL40rocblas_copy_triangular_syrk_herk_kernelILb1ELb0ELb0EdPdLi16ELi16EEviT3_ilPT2_i.kd
    .uniform_work_group_size: 1
    .uses_dynamic_stack: false
    .vgpr_count:     8
    .vgpr_spill_count: 0
    .wavefront_size: 32
    .workgroup_processor_mode: 1
  - .args:
      - .offset:         0
        .size:           4
        .value_kind:     by_value
      - .address_space:  global
        .offset:         8
        .size:           8
        .value_kind:     global_buffer
      - .offset:         16
        .size:           4
        .value_kind:     by_value
      - .offset:         24
        .size:           8
        .value_kind:     by_value
      - .address_space:  global
        .offset:         32
        .size:           8
        .value_kind:     global_buffer
      - .offset:         40
        .size:           4
        .value_kind:     by_value
      - .offset:         48
        .size:           4
        .value_kind:     hidden_block_count_x
      - .offset:         52
        .size:           4
        .value_kind:     hidden_block_count_y
      - .offset:         56
        .size:           4
        .value_kind:     hidden_block_count_z
      - .offset:         60
        .size:           2
        .value_kind:     hidden_group_size_x
      - .offset:         62
        .size:           2
        .value_kind:     hidden_group_size_y
      - .offset:         64
        .size:           2
        .value_kind:     hidden_group_size_z
      - .offset:         66
        .size:           2
        .value_kind:     hidden_remainder_x
      - .offset:         68
        .size:           2
        .value_kind:     hidden_remainder_y
      - .offset:         70
        .size:           2
        .value_kind:     hidden_remainder_z
      - .offset:         88
        .size:           8
        .value_kind:     hidden_global_offset_x
      - .offset:         96
        .size:           8
        .value_kind:     hidden_global_offset_y
      - .offset:         104
        .size:           8
        .value_kind:     hidden_global_offset_z
      - .offset:         112
        .size:           2
        .value_kind:     hidden_grid_dims
    .group_segment_fixed_size: 0
    .kernarg_segment_align: 8
    .kernarg_segment_size: 304
    .language:       OpenCL C
    .language_version:
      - 2
      - 0
    .max_flat_workgroup_size: 256
    .name:           _ZL40rocblas_copy_triangular_syrk_herk_kernelILb0ELb1ELb0EdPdLi16ELi16EEviT3_ilPT2_i
    .private_segment_fixed_size: 0
    .sgpr_count:     18
    .sgpr_spill_count: 0
    .symbol:         _ZL40rocblas_copy_triangular_syrk_herk_kernelILb0ELb1ELb0EdPdLi16ELi16EEviT3_ilPT2_i.kd
    .uniform_work_group_size: 1
    .uses_dynamic_stack: false
    .vgpr_count:     6
    .vgpr_spill_count: 0
    .wavefront_size: 32
    .workgroup_processor_mode: 1
  - .args:
      - .offset:         0
        .size:           4
        .value_kind:     by_value
      - .address_space:  global
        .offset:         8
        .size:           8
        .value_kind:     global_buffer
      - .offset:         16
        .size:           4
        .value_kind:     by_value
      - .offset:         24
        .size:           8
        .value_kind:     by_value
      - .address_space:  global
        .offset:         32
        .size:           8
        .value_kind:     global_buffer
      - .offset:         40
        .size:           4
        .value_kind:     by_value
      - .offset:         48
        .size:           4
        .value_kind:     hidden_block_count_x
      - .offset:         52
        .size:           4
        .value_kind:     hidden_block_count_y
      - .offset:         56
        .size:           4
        .value_kind:     hidden_block_count_z
      - .offset:         60
        .size:           2
        .value_kind:     hidden_group_size_x
      - .offset:         62
        .size:           2
        .value_kind:     hidden_group_size_y
      - .offset:         64
        .size:           2
        .value_kind:     hidden_group_size_z
      - .offset:         66
        .size:           2
        .value_kind:     hidden_remainder_x
      - .offset:         68
        .size:           2
        .value_kind:     hidden_remainder_y
      - .offset:         70
        .size:           2
        .value_kind:     hidden_remainder_z
      - .offset:         88
        .size:           8
        .value_kind:     hidden_global_offset_x
      - .offset:         96
        .size:           8
        .value_kind:     hidden_global_offset_y
      - .offset:         104
        .size:           8
        .value_kind:     hidden_global_offset_z
      - .offset:         112
        .size:           2
        .value_kind:     hidden_grid_dims
    .group_segment_fixed_size: 0
    .kernarg_segment_align: 8
    .kernarg_segment_size: 304
    .language:       OpenCL C
    .language_version:
      - 2
      - 0
    .max_flat_workgroup_size: 256
    .name:           _ZL40rocblas_copy_triangular_syrk_herk_kernelILb0ELb0ELb0EdPdLi16ELi16EEviT3_ilPT2_i
    .private_segment_fixed_size: 0
    .sgpr_count:     18
    .sgpr_spill_count: 0
    .symbol:         _ZL40rocblas_copy_triangular_syrk_herk_kernelILb0ELb0ELb0EdPdLi16ELi16EEviT3_ilPT2_i.kd
    .uniform_work_group_size: 1
    .uses_dynamic_stack: false
    .vgpr_count:     6
    .vgpr_spill_count: 0
    .wavefront_size: 32
    .workgroup_processor_mode: 1
  - .args:
      - .offset:         0
        .size:           4
        .value_kind:     by_value
      - .address_space:  global
        .offset:         8
        .size:           8
        .value_kind:     global_buffer
      - .offset:         16
        .size:           4
        .value_kind:     by_value
      - .offset:         24
        .size:           8
        .value_kind:     by_value
      - .address_space:  global
        .offset:         32
        .size:           8
        .value_kind:     global_buffer
      - .offset:         40
        .size:           4
        .value_kind:     by_value
      - .offset:         48
        .size:           4
        .value_kind:     hidden_block_count_x
      - .offset:         52
        .size:           4
        .value_kind:     hidden_block_count_y
      - .offset:         56
        .size:           4
        .value_kind:     hidden_block_count_z
      - .offset:         60
        .size:           2
        .value_kind:     hidden_group_size_x
      - .offset:         62
        .size:           2
        .value_kind:     hidden_group_size_y
      - .offset:         64
        .size:           2
        .value_kind:     hidden_group_size_z
      - .offset:         66
        .size:           2
        .value_kind:     hidden_remainder_x
      - .offset:         68
        .size:           2
        .value_kind:     hidden_remainder_y
      - .offset:         70
        .size:           2
        .value_kind:     hidden_remainder_z
      - .offset:         88
        .size:           8
        .value_kind:     hidden_global_offset_x
      - .offset:         96
        .size:           8
        .value_kind:     hidden_global_offset_y
      - .offset:         104
        .size:           8
        .value_kind:     hidden_global_offset_z
      - .offset:         112
        .size:           2
        .value_kind:     hidden_grid_dims
    .group_segment_fixed_size: 0
    .kernarg_segment_align: 8
    .kernarg_segment_size: 304
    .language:       OpenCL C
    .language_version:
      - 2
      - 0
    .max_flat_workgroup_size: 256
    .name:           _ZL40rocblas_copy_triangular_syrk_herk_kernelILb1ELb1ELb0E19rocblas_complex_numIfEPS1_Li16ELi16EEviT3_ilPT2_i
    .private_segment_fixed_size: 0
    .sgpr_count:     18
    .sgpr_spill_count: 0
    .symbol:         _ZL40rocblas_copy_triangular_syrk_herk_kernelILb1ELb1ELb0E19rocblas_complex_numIfEPS1_Li16ELi16EEviT3_ilPT2_i.kd
    .uniform_work_group_size: 1
    .uses_dynamic_stack: false
    .vgpr_count:     8
    .vgpr_spill_count: 0
    .wavefront_size: 32
    .workgroup_processor_mode: 1
  - .args:
      - .offset:         0
        .size:           4
        .value_kind:     by_value
      - .address_space:  global
        .offset:         8
        .size:           8
        .value_kind:     global_buffer
      - .offset:         16
        .size:           4
        .value_kind:     by_value
      - .offset:         24
        .size:           8
        .value_kind:     by_value
      - .address_space:  global
        .offset:         32
        .size:           8
        .value_kind:     global_buffer
      - .offset:         40
        .size:           4
        .value_kind:     by_value
      - .offset:         48
        .size:           4
        .value_kind:     hidden_block_count_x
      - .offset:         52
        .size:           4
        .value_kind:     hidden_block_count_y
      - .offset:         56
        .size:           4
        .value_kind:     hidden_block_count_z
      - .offset:         60
        .size:           2
        .value_kind:     hidden_group_size_x
      - .offset:         62
        .size:           2
        .value_kind:     hidden_group_size_y
      - .offset:         64
        .size:           2
        .value_kind:     hidden_group_size_z
      - .offset:         66
        .size:           2
        .value_kind:     hidden_remainder_x
      - .offset:         68
        .size:           2
        .value_kind:     hidden_remainder_y
      - .offset:         70
        .size:           2
        .value_kind:     hidden_remainder_z
      - .offset:         88
        .size:           8
        .value_kind:     hidden_global_offset_x
      - .offset:         96
        .size:           8
        .value_kind:     hidden_global_offset_y
      - .offset:         104
        .size:           8
        .value_kind:     hidden_global_offset_z
      - .offset:         112
        .size:           2
        .value_kind:     hidden_grid_dims
    .group_segment_fixed_size: 0
    .kernarg_segment_align: 8
    .kernarg_segment_size: 304
    .language:       OpenCL C
    .language_version:
      - 2
      - 0
    .max_flat_workgroup_size: 256
    .name:           _ZL40rocblas_copy_triangular_syrk_herk_kernelILb1ELb0ELb0E19rocblas_complex_numIfEPS1_Li16ELi16EEviT3_ilPT2_i
    .private_segment_fixed_size: 0
    .sgpr_count:     18
    .sgpr_spill_count: 0
    .symbol:         _ZL40rocblas_copy_triangular_syrk_herk_kernelILb1ELb0ELb0E19rocblas_complex_numIfEPS1_Li16ELi16EEviT3_ilPT2_i.kd
    .uniform_work_group_size: 1
    .uses_dynamic_stack: false
    .vgpr_count:     8
    .vgpr_spill_count: 0
    .wavefront_size: 32
    .workgroup_processor_mode: 1
  - .args:
      - .offset:         0
        .size:           4
        .value_kind:     by_value
      - .address_space:  global
        .offset:         8
        .size:           8
        .value_kind:     global_buffer
      - .offset:         16
        .size:           4
        .value_kind:     by_value
      - .offset:         24
        .size:           8
        .value_kind:     by_value
      - .address_space:  global
        .offset:         32
        .size:           8
        .value_kind:     global_buffer
      - .offset:         40
        .size:           4
        .value_kind:     by_value
      - .offset:         48
        .size:           4
        .value_kind:     hidden_block_count_x
      - .offset:         52
        .size:           4
        .value_kind:     hidden_block_count_y
      - .offset:         56
        .size:           4
        .value_kind:     hidden_block_count_z
      - .offset:         60
        .size:           2
        .value_kind:     hidden_group_size_x
      - .offset:         62
        .size:           2
        .value_kind:     hidden_group_size_y
      - .offset:         64
        .size:           2
        .value_kind:     hidden_group_size_z
      - .offset:         66
        .size:           2
        .value_kind:     hidden_remainder_x
      - .offset:         68
        .size:           2
        .value_kind:     hidden_remainder_y
      - .offset:         70
        .size:           2
        .value_kind:     hidden_remainder_z
      - .offset:         88
        .size:           8
        .value_kind:     hidden_global_offset_x
      - .offset:         96
        .size:           8
        .value_kind:     hidden_global_offset_y
      - .offset:         104
        .size:           8
        .value_kind:     hidden_global_offset_z
      - .offset:         112
        .size:           2
        .value_kind:     hidden_grid_dims
    .group_segment_fixed_size: 0
    .kernarg_segment_align: 8
    .kernarg_segment_size: 304
    .language:       OpenCL C
    .language_version:
      - 2
      - 0
    .max_flat_workgroup_size: 256
    .name:           _ZL40rocblas_copy_triangular_syrk_herk_kernelILb0ELb1ELb0E19rocblas_complex_numIfEPS1_Li16ELi16EEviT3_ilPT2_i
    .private_segment_fixed_size: 0
    .sgpr_count:     18
    .sgpr_spill_count: 0
    .symbol:         _ZL40rocblas_copy_triangular_syrk_herk_kernelILb0ELb1ELb0E19rocblas_complex_numIfEPS1_Li16ELi16EEviT3_ilPT2_i.kd
    .uniform_work_group_size: 1
    .uses_dynamic_stack: false
    .vgpr_count:     6
    .vgpr_spill_count: 0
    .wavefront_size: 32
    .workgroup_processor_mode: 1
  - .args:
      - .offset:         0
        .size:           4
        .value_kind:     by_value
      - .address_space:  global
        .offset:         8
        .size:           8
        .value_kind:     global_buffer
      - .offset:         16
        .size:           4
        .value_kind:     by_value
      - .offset:         24
        .size:           8
        .value_kind:     by_value
      - .address_space:  global
        .offset:         32
        .size:           8
        .value_kind:     global_buffer
      - .offset:         40
        .size:           4
        .value_kind:     by_value
      - .offset:         48
        .size:           4
        .value_kind:     hidden_block_count_x
      - .offset:         52
        .size:           4
        .value_kind:     hidden_block_count_y
      - .offset:         56
        .size:           4
        .value_kind:     hidden_block_count_z
      - .offset:         60
        .size:           2
        .value_kind:     hidden_group_size_x
      - .offset:         62
        .size:           2
        .value_kind:     hidden_group_size_y
      - .offset:         64
        .size:           2
        .value_kind:     hidden_group_size_z
      - .offset:         66
        .size:           2
        .value_kind:     hidden_remainder_x
      - .offset:         68
        .size:           2
        .value_kind:     hidden_remainder_y
      - .offset:         70
        .size:           2
        .value_kind:     hidden_remainder_z
      - .offset:         88
        .size:           8
        .value_kind:     hidden_global_offset_x
      - .offset:         96
        .size:           8
        .value_kind:     hidden_global_offset_y
      - .offset:         104
        .size:           8
        .value_kind:     hidden_global_offset_z
      - .offset:         112
        .size:           2
        .value_kind:     hidden_grid_dims
    .group_segment_fixed_size: 0
    .kernarg_segment_align: 8
    .kernarg_segment_size: 304
    .language:       OpenCL C
    .language_version:
      - 2
      - 0
    .max_flat_workgroup_size: 256
    .name:           _ZL40rocblas_copy_triangular_syrk_herk_kernelILb0ELb0ELb0E19rocblas_complex_numIfEPS1_Li16ELi16EEviT3_ilPT2_i
    .private_segment_fixed_size: 0
    .sgpr_count:     18
    .sgpr_spill_count: 0
    .symbol:         _ZL40rocblas_copy_triangular_syrk_herk_kernelILb0ELb0ELb0E19rocblas_complex_numIfEPS1_Li16ELi16EEviT3_ilPT2_i.kd
    .uniform_work_group_size: 1
    .uses_dynamic_stack: false
    .vgpr_count:     6
    .vgpr_spill_count: 0
    .wavefront_size: 32
    .workgroup_processor_mode: 1
  - .args:
      - .offset:         0
        .size:           4
        .value_kind:     by_value
      - .address_space:  global
        .offset:         8
        .size:           8
        .value_kind:     global_buffer
      - .offset:         16
        .size:           4
        .value_kind:     by_value
      - .offset:         24
        .size:           8
        .value_kind:     by_value
      - .address_space:  global
        .offset:         32
        .size:           8
        .value_kind:     global_buffer
      - .offset:         40
        .size:           4
        .value_kind:     by_value
      - .offset:         48
        .size:           4
        .value_kind:     hidden_block_count_x
      - .offset:         52
        .size:           4
        .value_kind:     hidden_block_count_y
      - .offset:         56
        .size:           4
        .value_kind:     hidden_block_count_z
      - .offset:         60
        .size:           2
        .value_kind:     hidden_group_size_x
      - .offset:         62
        .size:           2
        .value_kind:     hidden_group_size_y
      - .offset:         64
        .size:           2
        .value_kind:     hidden_group_size_z
      - .offset:         66
        .size:           2
        .value_kind:     hidden_remainder_x
      - .offset:         68
        .size:           2
        .value_kind:     hidden_remainder_y
      - .offset:         70
        .size:           2
        .value_kind:     hidden_remainder_z
      - .offset:         88
        .size:           8
        .value_kind:     hidden_global_offset_x
      - .offset:         96
        .size:           8
        .value_kind:     hidden_global_offset_y
      - .offset:         104
        .size:           8
        .value_kind:     hidden_global_offset_z
      - .offset:         112
        .size:           2
        .value_kind:     hidden_grid_dims
    .group_segment_fixed_size: 0
    .kernarg_segment_align: 8
    .kernarg_segment_size: 304
    .language:       OpenCL C
    .language_version:
      - 2
      - 0
    .max_flat_workgroup_size: 256
    .name:           _ZL40rocblas_copy_triangular_syrk_herk_kernelILb1ELb1ELb0E19rocblas_complex_numIdEPS1_Li16ELi16EEviT3_ilPT2_i
    .private_segment_fixed_size: 0
    .sgpr_count:     18
    .sgpr_spill_count: 0
    .symbol:         _ZL40rocblas_copy_triangular_syrk_herk_kernelILb1ELb1ELb0E19rocblas_complex_numIdEPS1_Li16ELi16EEviT3_ilPT2_i.kd
    .uniform_work_group_size: 1
    .uses_dynamic_stack: false
    .vgpr_count:     8
    .vgpr_spill_count: 0
    .wavefront_size: 32
    .workgroup_processor_mode: 1
  - .args:
      - .offset:         0
        .size:           4
        .value_kind:     by_value
      - .address_space:  global
        .offset:         8
        .size:           8
        .value_kind:     global_buffer
      - .offset:         16
        .size:           4
        .value_kind:     by_value
      - .offset:         24
        .size:           8
        .value_kind:     by_value
      - .address_space:  global
        .offset:         32
        .size:           8
        .value_kind:     global_buffer
      - .offset:         40
        .size:           4
        .value_kind:     by_value
      - .offset:         48
        .size:           4
        .value_kind:     hidden_block_count_x
      - .offset:         52
        .size:           4
        .value_kind:     hidden_block_count_y
      - .offset:         56
        .size:           4
        .value_kind:     hidden_block_count_z
      - .offset:         60
        .size:           2
        .value_kind:     hidden_group_size_x
      - .offset:         62
        .size:           2
        .value_kind:     hidden_group_size_y
      - .offset:         64
        .size:           2
        .value_kind:     hidden_group_size_z
      - .offset:         66
        .size:           2
        .value_kind:     hidden_remainder_x
      - .offset:         68
        .size:           2
        .value_kind:     hidden_remainder_y
      - .offset:         70
        .size:           2
        .value_kind:     hidden_remainder_z
      - .offset:         88
        .size:           8
        .value_kind:     hidden_global_offset_x
      - .offset:         96
        .size:           8
        .value_kind:     hidden_global_offset_y
      - .offset:         104
        .size:           8
        .value_kind:     hidden_global_offset_z
      - .offset:         112
        .size:           2
        .value_kind:     hidden_grid_dims
    .group_segment_fixed_size: 0
    .kernarg_segment_align: 8
    .kernarg_segment_size: 304
    .language:       OpenCL C
    .language_version:
      - 2
      - 0
    .max_flat_workgroup_size: 256
    .name:           _ZL40rocblas_copy_triangular_syrk_herk_kernelILb1ELb0ELb0E19rocblas_complex_numIdEPS1_Li16ELi16EEviT3_ilPT2_i
    .private_segment_fixed_size: 0
    .sgpr_count:     18
    .sgpr_spill_count: 0
    .symbol:         _ZL40rocblas_copy_triangular_syrk_herk_kernelILb1ELb0ELb0E19rocblas_complex_numIdEPS1_Li16ELi16EEviT3_ilPT2_i.kd
    .uniform_work_group_size: 1
    .uses_dynamic_stack: false
    .vgpr_count:     8
    .vgpr_spill_count: 0
    .wavefront_size: 32
    .workgroup_processor_mode: 1
  - .args:
      - .offset:         0
        .size:           4
        .value_kind:     by_value
      - .address_space:  global
        .offset:         8
        .size:           8
        .value_kind:     global_buffer
      - .offset:         16
        .size:           4
        .value_kind:     by_value
      - .offset:         24
        .size:           8
        .value_kind:     by_value
      - .address_space:  global
        .offset:         32
        .size:           8
        .value_kind:     global_buffer
      - .offset:         40
        .size:           4
        .value_kind:     by_value
      - .offset:         48
        .size:           4
        .value_kind:     hidden_block_count_x
      - .offset:         52
        .size:           4
        .value_kind:     hidden_block_count_y
      - .offset:         56
        .size:           4
        .value_kind:     hidden_block_count_z
      - .offset:         60
        .size:           2
        .value_kind:     hidden_group_size_x
      - .offset:         62
        .size:           2
        .value_kind:     hidden_group_size_y
      - .offset:         64
        .size:           2
        .value_kind:     hidden_group_size_z
      - .offset:         66
        .size:           2
        .value_kind:     hidden_remainder_x
      - .offset:         68
        .size:           2
        .value_kind:     hidden_remainder_y
      - .offset:         70
        .size:           2
        .value_kind:     hidden_remainder_z
      - .offset:         88
        .size:           8
        .value_kind:     hidden_global_offset_x
      - .offset:         96
        .size:           8
        .value_kind:     hidden_global_offset_y
      - .offset:         104
        .size:           8
        .value_kind:     hidden_global_offset_z
      - .offset:         112
        .size:           2
        .value_kind:     hidden_grid_dims
    .group_segment_fixed_size: 0
    .kernarg_segment_align: 8
    .kernarg_segment_size: 304
    .language:       OpenCL C
    .language_version:
      - 2
      - 0
    .max_flat_workgroup_size: 256
    .name:           _ZL40rocblas_copy_triangular_syrk_herk_kernelILb0ELb1ELb0E19rocblas_complex_numIdEPS1_Li16ELi16EEviT3_ilPT2_i
    .private_segment_fixed_size: 0
    .sgpr_count:     18
    .sgpr_spill_count: 0
    .symbol:         _ZL40rocblas_copy_triangular_syrk_herk_kernelILb0ELb1ELb0E19rocblas_complex_numIdEPS1_Li16ELi16EEviT3_ilPT2_i.kd
    .uniform_work_group_size: 1
    .uses_dynamic_stack: false
    .vgpr_count:     8
    .vgpr_spill_count: 0
    .wavefront_size: 32
    .workgroup_processor_mode: 1
  - .args:
      - .offset:         0
        .size:           4
        .value_kind:     by_value
      - .address_space:  global
        .offset:         8
        .size:           8
        .value_kind:     global_buffer
      - .offset:         16
        .size:           4
        .value_kind:     by_value
      - .offset:         24
        .size:           8
        .value_kind:     by_value
      - .address_space:  global
        .offset:         32
        .size:           8
        .value_kind:     global_buffer
      - .offset:         40
        .size:           4
        .value_kind:     by_value
      - .offset:         48
        .size:           4
        .value_kind:     hidden_block_count_x
      - .offset:         52
        .size:           4
        .value_kind:     hidden_block_count_y
      - .offset:         56
        .size:           4
        .value_kind:     hidden_block_count_z
      - .offset:         60
        .size:           2
        .value_kind:     hidden_group_size_x
      - .offset:         62
        .size:           2
        .value_kind:     hidden_group_size_y
      - .offset:         64
        .size:           2
        .value_kind:     hidden_group_size_z
      - .offset:         66
        .size:           2
        .value_kind:     hidden_remainder_x
      - .offset:         68
        .size:           2
        .value_kind:     hidden_remainder_y
      - .offset:         70
        .size:           2
        .value_kind:     hidden_remainder_z
      - .offset:         88
        .size:           8
        .value_kind:     hidden_global_offset_x
      - .offset:         96
        .size:           8
        .value_kind:     hidden_global_offset_y
      - .offset:         104
        .size:           8
        .value_kind:     hidden_global_offset_z
      - .offset:         112
        .size:           2
        .value_kind:     hidden_grid_dims
    .group_segment_fixed_size: 0
    .kernarg_segment_align: 8
    .kernarg_segment_size: 304
    .language:       OpenCL C
    .language_version:
      - 2
      - 0
    .max_flat_workgroup_size: 256
    .name:           _ZL40rocblas_copy_triangular_syrk_herk_kernelILb0ELb0ELb0E19rocblas_complex_numIdEPS1_Li16ELi16EEviT3_ilPT2_i
    .private_segment_fixed_size: 0
    .sgpr_count:     18
    .sgpr_spill_count: 0
    .symbol:         _ZL40rocblas_copy_triangular_syrk_herk_kernelILb0ELb0ELb0E19rocblas_complex_numIdEPS1_Li16ELi16EEviT3_ilPT2_i.kd
    .uniform_work_group_size: 1
    .uses_dynamic_stack: false
    .vgpr_count:     8
    .vgpr_spill_count: 0
    .wavefront_size: 32
    .workgroup_processor_mode: 1
  - .args:
      - .offset:         0
        .size:           4
        .value_kind:     by_value
      - .address_space:  global
        .offset:         8
        .size:           8
        .value_kind:     global_buffer
      - .offset:         16
        .size:           4
        .value_kind:     by_value
      - .offset:         24
        .size:           8
        .value_kind:     by_value
      - .address_space:  global
        .offset:         32
        .size:           8
        .value_kind:     global_buffer
      - .offset:         40
        .size:           4
        .value_kind:     by_value
      - .offset:         48
        .size:           4
        .value_kind:     hidden_block_count_x
      - .offset:         52
        .size:           4
        .value_kind:     hidden_block_count_y
      - .offset:         56
        .size:           4
        .value_kind:     hidden_block_count_z
      - .offset:         60
        .size:           2
        .value_kind:     hidden_group_size_x
      - .offset:         62
        .size:           2
        .value_kind:     hidden_group_size_y
      - .offset:         64
        .size:           2
        .value_kind:     hidden_group_size_z
      - .offset:         66
        .size:           2
        .value_kind:     hidden_remainder_x
      - .offset:         68
        .size:           2
        .value_kind:     hidden_remainder_y
      - .offset:         70
        .size:           2
        .value_kind:     hidden_remainder_z
      - .offset:         88
        .size:           8
        .value_kind:     hidden_global_offset_x
      - .offset:         96
        .size:           8
        .value_kind:     hidden_global_offset_y
      - .offset:         104
        .size:           8
        .value_kind:     hidden_global_offset_z
      - .offset:         112
        .size:           2
        .value_kind:     hidden_grid_dims
    .group_segment_fixed_size: 0
    .kernarg_segment_align: 8
    .kernarg_segment_size: 304
    .language:       OpenCL C
    .language_version:
      - 2
      - 0
    .max_flat_workgroup_size: 256
    .name:           _ZL40rocblas_copy_triangular_syrk_herk_kernelILb1ELb1ELb0EfPKPfLi16ELi16EEviT3_ilPT2_i
    .private_segment_fixed_size: 0
    .sgpr_count:     18
    .sgpr_spill_count: 0
    .symbol:         _ZL40rocblas_copy_triangular_syrk_herk_kernelILb1ELb1ELb0EfPKPfLi16ELi16EEviT3_ilPT2_i.kd
    .uniform_work_group_size: 1
    .uses_dynamic_stack: false
    .vgpr_count:     8
    .vgpr_spill_count: 0
    .wavefront_size: 32
    .workgroup_processor_mode: 1
  - .args:
      - .offset:         0
        .size:           4
        .value_kind:     by_value
      - .address_space:  global
        .offset:         8
        .size:           8
        .value_kind:     global_buffer
      - .offset:         16
        .size:           4
        .value_kind:     by_value
      - .offset:         24
        .size:           8
        .value_kind:     by_value
      - .address_space:  global
        .offset:         32
        .size:           8
        .value_kind:     global_buffer
      - .offset:         40
        .size:           4
        .value_kind:     by_value
      - .offset:         48
        .size:           4
        .value_kind:     hidden_block_count_x
      - .offset:         52
        .size:           4
        .value_kind:     hidden_block_count_y
      - .offset:         56
        .size:           4
        .value_kind:     hidden_block_count_z
      - .offset:         60
        .size:           2
        .value_kind:     hidden_group_size_x
      - .offset:         62
        .size:           2
        .value_kind:     hidden_group_size_y
      - .offset:         64
        .size:           2
        .value_kind:     hidden_group_size_z
      - .offset:         66
        .size:           2
        .value_kind:     hidden_remainder_x
      - .offset:         68
        .size:           2
        .value_kind:     hidden_remainder_y
      - .offset:         70
        .size:           2
        .value_kind:     hidden_remainder_z
      - .offset:         88
        .size:           8
        .value_kind:     hidden_global_offset_x
      - .offset:         96
        .size:           8
        .value_kind:     hidden_global_offset_y
      - .offset:         104
        .size:           8
        .value_kind:     hidden_global_offset_z
      - .offset:         112
        .size:           2
        .value_kind:     hidden_grid_dims
    .group_segment_fixed_size: 0
    .kernarg_segment_align: 8
    .kernarg_segment_size: 304
    .language:       OpenCL C
    .language_version:
      - 2
      - 0
    .max_flat_workgroup_size: 256
    .name:           _ZL40rocblas_copy_triangular_syrk_herk_kernelILb1ELb0ELb0EfPKPfLi16ELi16EEviT3_ilPT2_i
    .private_segment_fixed_size: 0
    .sgpr_count:     18
    .sgpr_spill_count: 0
    .symbol:         _ZL40rocblas_copy_triangular_syrk_herk_kernelILb1ELb0ELb0EfPKPfLi16ELi16EEviT3_ilPT2_i.kd
    .uniform_work_group_size: 1
    .uses_dynamic_stack: false
    .vgpr_count:     8
    .vgpr_spill_count: 0
    .wavefront_size: 32
    .workgroup_processor_mode: 1
  - .args:
      - .offset:         0
        .size:           4
        .value_kind:     by_value
      - .address_space:  global
        .offset:         8
        .size:           8
        .value_kind:     global_buffer
      - .offset:         16
        .size:           4
        .value_kind:     by_value
      - .offset:         24
        .size:           8
        .value_kind:     by_value
      - .address_space:  global
        .offset:         32
        .size:           8
        .value_kind:     global_buffer
      - .offset:         40
        .size:           4
        .value_kind:     by_value
      - .offset:         48
        .size:           4
        .value_kind:     hidden_block_count_x
      - .offset:         52
        .size:           4
        .value_kind:     hidden_block_count_y
      - .offset:         56
        .size:           4
        .value_kind:     hidden_block_count_z
      - .offset:         60
        .size:           2
        .value_kind:     hidden_group_size_x
      - .offset:         62
        .size:           2
        .value_kind:     hidden_group_size_y
      - .offset:         64
        .size:           2
        .value_kind:     hidden_group_size_z
      - .offset:         66
        .size:           2
        .value_kind:     hidden_remainder_x
      - .offset:         68
        .size:           2
        .value_kind:     hidden_remainder_y
      - .offset:         70
        .size:           2
        .value_kind:     hidden_remainder_z
      - .offset:         88
        .size:           8
        .value_kind:     hidden_global_offset_x
      - .offset:         96
        .size:           8
        .value_kind:     hidden_global_offset_y
      - .offset:         104
        .size:           8
        .value_kind:     hidden_global_offset_z
      - .offset:         112
        .size:           2
        .value_kind:     hidden_grid_dims
    .group_segment_fixed_size: 0
    .kernarg_segment_align: 8
    .kernarg_segment_size: 304
    .language:       OpenCL C
    .language_version:
      - 2
      - 0
    .max_flat_workgroup_size: 256
    .name:           _ZL40rocblas_copy_triangular_syrk_herk_kernelILb0ELb1ELb0EfPKPfLi16ELi16EEviT3_ilPT2_i
    .private_segment_fixed_size: 0
    .sgpr_count:     18
    .sgpr_spill_count: 0
    .symbol:         _ZL40rocblas_copy_triangular_syrk_herk_kernelILb0ELb1ELb0EfPKPfLi16ELi16EEviT3_ilPT2_i.kd
    .uniform_work_group_size: 1
    .uses_dynamic_stack: false
    .vgpr_count:     5
    .vgpr_spill_count: 0
    .wavefront_size: 32
    .workgroup_processor_mode: 1
  - .args:
      - .offset:         0
        .size:           4
        .value_kind:     by_value
      - .address_space:  global
        .offset:         8
        .size:           8
        .value_kind:     global_buffer
      - .offset:         16
        .size:           4
        .value_kind:     by_value
      - .offset:         24
        .size:           8
        .value_kind:     by_value
      - .address_space:  global
        .offset:         32
        .size:           8
        .value_kind:     global_buffer
      - .offset:         40
        .size:           4
        .value_kind:     by_value
      - .offset:         48
        .size:           4
        .value_kind:     hidden_block_count_x
      - .offset:         52
        .size:           4
        .value_kind:     hidden_block_count_y
      - .offset:         56
        .size:           4
        .value_kind:     hidden_block_count_z
      - .offset:         60
        .size:           2
        .value_kind:     hidden_group_size_x
      - .offset:         62
        .size:           2
        .value_kind:     hidden_group_size_y
      - .offset:         64
        .size:           2
        .value_kind:     hidden_group_size_z
      - .offset:         66
        .size:           2
        .value_kind:     hidden_remainder_x
      - .offset:         68
        .size:           2
        .value_kind:     hidden_remainder_y
      - .offset:         70
        .size:           2
        .value_kind:     hidden_remainder_z
      - .offset:         88
        .size:           8
        .value_kind:     hidden_global_offset_x
      - .offset:         96
        .size:           8
        .value_kind:     hidden_global_offset_y
      - .offset:         104
        .size:           8
        .value_kind:     hidden_global_offset_z
      - .offset:         112
        .size:           2
        .value_kind:     hidden_grid_dims
    .group_segment_fixed_size: 0
    .kernarg_segment_align: 8
    .kernarg_segment_size: 304
    .language:       OpenCL C
    .language_version:
      - 2
      - 0
    .max_flat_workgroup_size: 256
    .name:           _ZL40rocblas_copy_triangular_syrk_herk_kernelILb0ELb0ELb0EfPKPfLi16ELi16EEviT3_ilPT2_i
    .private_segment_fixed_size: 0
    .sgpr_count:     18
    .sgpr_spill_count: 0
    .symbol:         _ZL40rocblas_copy_triangular_syrk_herk_kernelILb0ELb0ELb0EfPKPfLi16ELi16EEviT3_ilPT2_i.kd
    .uniform_work_group_size: 1
    .uses_dynamic_stack: false
    .vgpr_count:     5
    .vgpr_spill_count: 0
    .wavefront_size: 32
    .workgroup_processor_mode: 1
  - .args:
      - .offset:         0
        .size:           4
        .value_kind:     by_value
      - .address_space:  global
        .offset:         8
        .size:           8
        .value_kind:     global_buffer
      - .offset:         16
        .size:           4
        .value_kind:     by_value
      - .offset:         24
        .size:           8
        .value_kind:     by_value
      - .address_space:  global
        .offset:         32
        .size:           8
        .value_kind:     global_buffer
      - .offset:         40
        .size:           4
        .value_kind:     by_value
      - .offset:         48
        .size:           4
        .value_kind:     hidden_block_count_x
      - .offset:         52
        .size:           4
        .value_kind:     hidden_block_count_y
      - .offset:         56
        .size:           4
        .value_kind:     hidden_block_count_z
      - .offset:         60
        .size:           2
        .value_kind:     hidden_group_size_x
      - .offset:         62
        .size:           2
        .value_kind:     hidden_group_size_y
      - .offset:         64
        .size:           2
        .value_kind:     hidden_group_size_z
      - .offset:         66
        .size:           2
        .value_kind:     hidden_remainder_x
      - .offset:         68
        .size:           2
        .value_kind:     hidden_remainder_y
      - .offset:         70
        .size:           2
        .value_kind:     hidden_remainder_z
      - .offset:         88
        .size:           8
        .value_kind:     hidden_global_offset_x
      - .offset:         96
        .size:           8
        .value_kind:     hidden_global_offset_y
      - .offset:         104
        .size:           8
        .value_kind:     hidden_global_offset_z
      - .offset:         112
        .size:           2
        .value_kind:     hidden_grid_dims
    .group_segment_fixed_size: 0
    .kernarg_segment_align: 8
    .kernarg_segment_size: 304
    .language:       OpenCL C
    .language_version:
      - 2
      - 0
    .max_flat_workgroup_size: 256
    .name:           _ZL40rocblas_copy_triangular_syrk_herk_kernelILb1ELb1ELb0EdPKPdLi16ELi16EEviT3_ilPT2_i
    .private_segment_fixed_size: 0
    .sgpr_count:     18
    .sgpr_spill_count: 0
    .symbol:         _ZL40rocblas_copy_triangular_syrk_herk_kernelILb1ELb1ELb0EdPKPdLi16ELi16EEviT3_ilPT2_i.kd
    .uniform_work_group_size: 1
    .uses_dynamic_stack: false
    .vgpr_count:     8
    .vgpr_spill_count: 0
    .wavefront_size: 32
    .workgroup_processor_mode: 1
  - .args:
      - .offset:         0
        .size:           4
        .value_kind:     by_value
      - .address_space:  global
        .offset:         8
        .size:           8
        .value_kind:     global_buffer
      - .offset:         16
        .size:           4
        .value_kind:     by_value
      - .offset:         24
        .size:           8
        .value_kind:     by_value
      - .address_space:  global
        .offset:         32
        .size:           8
        .value_kind:     global_buffer
      - .offset:         40
        .size:           4
        .value_kind:     by_value
      - .offset:         48
        .size:           4
        .value_kind:     hidden_block_count_x
      - .offset:         52
        .size:           4
        .value_kind:     hidden_block_count_y
      - .offset:         56
        .size:           4
        .value_kind:     hidden_block_count_z
      - .offset:         60
        .size:           2
        .value_kind:     hidden_group_size_x
      - .offset:         62
        .size:           2
        .value_kind:     hidden_group_size_y
      - .offset:         64
        .size:           2
        .value_kind:     hidden_group_size_z
      - .offset:         66
        .size:           2
        .value_kind:     hidden_remainder_x
      - .offset:         68
        .size:           2
        .value_kind:     hidden_remainder_y
      - .offset:         70
        .size:           2
        .value_kind:     hidden_remainder_z
      - .offset:         88
        .size:           8
        .value_kind:     hidden_global_offset_x
      - .offset:         96
        .size:           8
        .value_kind:     hidden_global_offset_y
      - .offset:         104
        .size:           8
        .value_kind:     hidden_global_offset_z
      - .offset:         112
        .size:           2
        .value_kind:     hidden_grid_dims
    .group_segment_fixed_size: 0
    .kernarg_segment_align: 8
    .kernarg_segment_size: 304
    .language:       OpenCL C
    .language_version:
      - 2
      - 0
    .max_flat_workgroup_size: 256
    .name:           _ZL40rocblas_copy_triangular_syrk_herk_kernelILb1ELb0ELb0EdPKPdLi16ELi16EEviT3_ilPT2_i
    .private_segment_fixed_size: 0
    .sgpr_count:     18
    .sgpr_spill_count: 0
    .symbol:         _ZL40rocblas_copy_triangular_syrk_herk_kernelILb1ELb0ELb0EdPKPdLi16ELi16EEviT3_ilPT2_i.kd
    .uniform_work_group_size: 1
    .uses_dynamic_stack: false
    .vgpr_count:     8
    .vgpr_spill_count: 0
    .wavefront_size: 32
    .workgroup_processor_mode: 1
  - .args:
      - .offset:         0
        .size:           4
        .value_kind:     by_value
      - .address_space:  global
        .offset:         8
        .size:           8
        .value_kind:     global_buffer
      - .offset:         16
        .size:           4
        .value_kind:     by_value
      - .offset:         24
        .size:           8
        .value_kind:     by_value
      - .address_space:  global
        .offset:         32
        .size:           8
        .value_kind:     global_buffer
      - .offset:         40
        .size:           4
        .value_kind:     by_value
      - .offset:         48
        .size:           4
        .value_kind:     hidden_block_count_x
      - .offset:         52
        .size:           4
        .value_kind:     hidden_block_count_y
      - .offset:         56
        .size:           4
        .value_kind:     hidden_block_count_z
      - .offset:         60
        .size:           2
        .value_kind:     hidden_group_size_x
      - .offset:         62
        .size:           2
        .value_kind:     hidden_group_size_y
      - .offset:         64
        .size:           2
        .value_kind:     hidden_group_size_z
      - .offset:         66
        .size:           2
        .value_kind:     hidden_remainder_x
      - .offset:         68
        .size:           2
        .value_kind:     hidden_remainder_y
      - .offset:         70
        .size:           2
        .value_kind:     hidden_remainder_z
      - .offset:         88
        .size:           8
        .value_kind:     hidden_global_offset_x
      - .offset:         96
        .size:           8
        .value_kind:     hidden_global_offset_y
      - .offset:         104
        .size:           8
        .value_kind:     hidden_global_offset_z
      - .offset:         112
        .size:           2
        .value_kind:     hidden_grid_dims
    .group_segment_fixed_size: 0
    .kernarg_segment_align: 8
    .kernarg_segment_size: 304
    .language:       OpenCL C
    .language_version:
      - 2
      - 0
    .max_flat_workgroup_size: 256
    .name:           _ZL40rocblas_copy_triangular_syrk_herk_kernelILb0ELb1ELb0EdPKPdLi16ELi16EEviT3_ilPT2_i
    .private_segment_fixed_size: 0
    .sgpr_count:     18
    .sgpr_spill_count: 0
    .symbol:         _ZL40rocblas_copy_triangular_syrk_herk_kernelILb0ELb1ELb0EdPKPdLi16ELi16EEviT3_ilPT2_i.kd
    .uniform_work_group_size: 1
    .uses_dynamic_stack: false
    .vgpr_count:     6
    .vgpr_spill_count: 0
    .wavefront_size: 32
    .workgroup_processor_mode: 1
  - .args:
      - .offset:         0
        .size:           4
        .value_kind:     by_value
      - .address_space:  global
        .offset:         8
        .size:           8
        .value_kind:     global_buffer
      - .offset:         16
        .size:           4
        .value_kind:     by_value
      - .offset:         24
        .size:           8
        .value_kind:     by_value
      - .address_space:  global
        .offset:         32
        .size:           8
        .value_kind:     global_buffer
      - .offset:         40
        .size:           4
        .value_kind:     by_value
      - .offset:         48
        .size:           4
        .value_kind:     hidden_block_count_x
      - .offset:         52
        .size:           4
        .value_kind:     hidden_block_count_y
      - .offset:         56
        .size:           4
        .value_kind:     hidden_block_count_z
      - .offset:         60
        .size:           2
        .value_kind:     hidden_group_size_x
      - .offset:         62
        .size:           2
        .value_kind:     hidden_group_size_y
      - .offset:         64
        .size:           2
        .value_kind:     hidden_group_size_z
      - .offset:         66
        .size:           2
        .value_kind:     hidden_remainder_x
      - .offset:         68
        .size:           2
        .value_kind:     hidden_remainder_y
      - .offset:         70
        .size:           2
        .value_kind:     hidden_remainder_z
      - .offset:         88
        .size:           8
        .value_kind:     hidden_global_offset_x
      - .offset:         96
        .size:           8
        .value_kind:     hidden_global_offset_y
      - .offset:         104
        .size:           8
        .value_kind:     hidden_global_offset_z
      - .offset:         112
        .size:           2
        .value_kind:     hidden_grid_dims
    .group_segment_fixed_size: 0
    .kernarg_segment_align: 8
    .kernarg_segment_size: 304
    .language:       OpenCL C
    .language_version:
      - 2
      - 0
    .max_flat_workgroup_size: 256
    .name:           _ZL40rocblas_copy_triangular_syrk_herk_kernelILb0ELb0ELb0EdPKPdLi16ELi16EEviT3_ilPT2_i
    .private_segment_fixed_size: 0
    .sgpr_count:     18
    .sgpr_spill_count: 0
    .symbol:         _ZL40rocblas_copy_triangular_syrk_herk_kernelILb0ELb0ELb0EdPKPdLi16ELi16EEviT3_ilPT2_i.kd
    .uniform_work_group_size: 1
    .uses_dynamic_stack: false
    .vgpr_count:     6
    .vgpr_spill_count: 0
    .wavefront_size: 32
    .workgroup_processor_mode: 1
  - .args:
      - .offset:         0
        .size:           4
        .value_kind:     by_value
      - .address_space:  global
        .offset:         8
        .size:           8
        .value_kind:     global_buffer
      - .offset:         16
        .size:           4
        .value_kind:     by_value
      - .offset:         24
        .size:           8
        .value_kind:     by_value
      - .address_space:  global
        .offset:         32
        .size:           8
        .value_kind:     global_buffer
      - .offset:         40
        .size:           4
        .value_kind:     by_value
      - .offset:         48
        .size:           4
        .value_kind:     hidden_block_count_x
      - .offset:         52
        .size:           4
        .value_kind:     hidden_block_count_y
      - .offset:         56
        .size:           4
        .value_kind:     hidden_block_count_z
      - .offset:         60
        .size:           2
        .value_kind:     hidden_group_size_x
      - .offset:         62
        .size:           2
        .value_kind:     hidden_group_size_y
      - .offset:         64
        .size:           2
        .value_kind:     hidden_group_size_z
      - .offset:         66
        .size:           2
        .value_kind:     hidden_remainder_x
      - .offset:         68
        .size:           2
        .value_kind:     hidden_remainder_y
      - .offset:         70
        .size:           2
        .value_kind:     hidden_remainder_z
      - .offset:         88
        .size:           8
        .value_kind:     hidden_global_offset_x
      - .offset:         96
        .size:           8
        .value_kind:     hidden_global_offset_y
      - .offset:         104
        .size:           8
        .value_kind:     hidden_global_offset_z
      - .offset:         112
        .size:           2
        .value_kind:     hidden_grid_dims
    .group_segment_fixed_size: 0
    .kernarg_segment_align: 8
    .kernarg_segment_size: 304
    .language:       OpenCL C
    .language_version:
      - 2
      - 0
    .max_flat_workgroup_size: 256
    .name:           _ZL40rocblas_copy_triangular_syrk_herk_kernelILb1ELb1ELb0E19rocblas_complex_numIfEPKPS1_Li16ELi16EEviT3_ilPT2_i
    .private_segment_fixed_size: 0
    .sgpr_count:     18
    .sgpr_spill_count: 0
    .symbol:         _ZL40rocblas_copy_triangular_syrk_herk_kernelILb1ELb1ELb0E19rocblas_complex_numIfEPKPS1_Li16ELi16EEviT3_ilPT2_i.kd
    .uniform_work_group_size: 1
    .uses_dynamic_stack: false
    .vgpr_count:     8
    .vgpr_spill_count: 0
    .wavefront_size: 32
    .workgroup_processor_mode: 1
  - .args:
      - .offset:         0
        .size:           4
        .value_kind:     by_value
      - .address_space:  global
        .offset:         8
        .size:           8
        .value_kind:     global_buffer
      - .offset:         16
        .size:           4
        .value_kind:     by_value
      - .offset:         24
        .size:           8
        .value_kind:     by_value
      - .address_space:  global
        .offset:         32
        .size:           8
        .value_kind:     global_buffer
      - .offset:         40
        .size:           4
        .value_kind:     by_value
      - .offset:         48
        .size:           4
        .value_kind:     hidden_block_count_x
      - .offset:         52
        .size:           4
        .value_kind:     hidden_block_count_y
      - .offset:         56
        .size:           4
        .value_kind:     hidden_block_count_z
      - .offset:         60
        .size:           2
        .value_kind:     hidden_group_size_x
      - .offset:         62
        .size:           2
        .value_kind:     hidden_group_size_y
      - .offset:         64
        .size:           2
        .value_kind:     hidden_group_size_z
      - .offset:         66
        .size:           2
        .value_kind:     hidden_remainder_x
      - .offset:         68
        .size:           2
        .value_kind:     hidden_remainder_y
      - .offset:         70
        .size:           2
        .value_kind:     hidden_remainder_z
      - .offset:         88
        .size:           8
        .value_kind:     hidden_global_offset_x
      - .offset:         96
        .size:           8
        .value_kind:     hidden_global_offset_y
      - .offset:         104
        .size:           8
        .value_kind:     hidden_global_offset_z
      - .offset:         112
        .size:           2
        .value_kind:     hidden_grid_dims
    .group_segment_fixed_size: 0
    .kernarg_segment_align: 8
    .kernarg_segment_size: 304
    .language:       OpenCL C
    .language_version:
      - 2
      - 0
    .max_flat_workgroup_size: 256
    .name:           _ZL40rocblas_copy_triangular_syrk_herk_kernelILb1ELb0ELb0E19rocblas_complex_numIfEPKPS1_Li16ELi16EEviT3_ilPT2_i
    .private_segment_fixed_size: 0
    .sgpr_count:     18
    .sgpr_spill_count: 0
    .symbol:         _ZL40rocblas_copy_triangular_syrk_herk_kernelILb1ELb0ELb0E19rocblas_complex_numIfEPKPS1_Li16ELi16EEviT3_ilPT2_i.kd
    .uniform_work_group_size: 1
    .uses_dynamic_stack: false
    .vgpr_count:     8
    .vgpr_spill_count: 0
    .wavefront_size: 32
    .workgroup_processor_mode: 1
  - .args:
      - .offset:         0
        .size:           4
        .value_kind:     by_value
      - .address_space:  global
        .offset:         8
        .size:           8
        .value_kind:     global_buffer
      - .offset:         16
        .size:           4
        .value_kind:     by_value
      - .offset:         24
        .size:           8
        .value_kind:     by_value
      - .address_space:  global
        .offset:         32
        .size:           8
        .value_kind:     global_buffer
      - .offset:         40
        .size:           4
        .value_kind:     by_value
      - .offset:         48
        .size:           4
        .value_kind:     hidden_block_count_x
      - .offset:         52
        .size:           4
        .value_kind:     hidden_block_count_y
      - .offset:         56
        .size:           4
        .value_kind:     hidden_block_count_z
      - .offset:         60
        .size:           2
        .value_kind:     hidden_group_size_x
      - .offset:         62
        .size:           2
        .value_kind:     hidden_group_size_y
      - .offset:         64
        .size:           2
        .value_kind:     hidden_group_size_z
      - .offset:         66
        .size:           2
        .value_kind:     hidden_remainder_x
      - .offset:         68
        .size:           2
        .value_kind:     hidden_remainder_y
      - .offset:         70
        .size:           2
        .value_kind:     hidden_remainder_z
      - .offset:         88
        .size:           8
        .value_kind:     hidden_global_offset_x
      - .offset:         96
        .size:           8
        .value_kind:     hidden_global_offset_y
      - .offset:         104
        .size:           8
        .value_kind:     hidden_global_offset_z
      - .offset:         112
        .size:           2
        .value_kind:     hidden_grid_dims
    .group_segment_fixed_size: 0
    .kernarg_segment_align: 8
    .kernarg_segment_size: 304
    .language:       OpenCL C
    .language_version:
      - 2
      - 0
    .max_flat_workgroup_size: 256
    .name:           _ZL40rocblas_copy_triangular_syrk_herk_kernelILb0ELb1ELb0E19rocblas_complex_numIfEPKPS1_Li16ELi16EEviT3_ilPT2_i
    .private_segment_fixed_size: 0
    .sgpr_count:     18
    .sgpr_spill_count: 0
    .symbol:         _ZL40rocblas_copy_triangular_syrk_herk_kernelILb0ELb1ELb0E19rocblas_complex_numIfEPKPS1_Li16ELi16EEviT3_ilPT2_i.kd
    .uniform_work_group_size: 1
    .uses_dynamic_stack: false
    .vgpr_count:     6
    .vgpr_spill_count: 0
    .wavefront_size: 32
    .workgroup_processor_mode: 1
  - .args:
      - .offset:         0
        .size:           4
        .value_kind:     by_value
      - .address_space:  global
        .offset:         8
        .size:           8
        .value_kind:     global_buffer
      - .offset:         16
        .size:           4
        .value_kind:     by_value
      - .offset:         24
        .size:           8
        .value_kind:     by_value
      - .address_space:  global
        .offset:         32
        .size:           8
        .value_kind:     global_buffer
      - .offset:         40
        .size:           4
        .value_kind:     by_value
      - .offset:         48
        .size:           4
        .value_kind:     hidden_block_count_x
      - .offset:         52
        .size:           4
        .value_kind:     hidden_block_count_y
      - .offset:         56
        .size:           4
        .value_kind:     hidden_block_count_z
      - .offset:         60
        .size:           2
        .value_kind:     hidden_group_size_x
      - .offset:         62
        .size:           2
        .value_kind:     hidden_group_size_y
      - .offset:         64
        .size:           2
        .value_kind:     hidden_group_size_z
      - .offset:         66
        .size:           2
        .value_kind:     hidden_remainder_x
      - .offset:         68
        .size:           2
        .value_kind:     hidden_remainder_y
      - .offset:         70
        .size:           2
        .value_kind:     hidden_remainder_z
      - .offset:         88
        .size:           8
        .value_kind:     hidden_global_offset_x
      - .offset:         96
        .size:           8
        .value_kind:     hidden_global_offset_y
      - .offset:         104
        .size:           8
        .value_kind:     hidden_global_offset_z
      - .offset:         112
        .size:           2
        .value_kind:     hidden_grid_dims
    .group_segment_fixed_size: 0
    .kernarg_segment_align: 8
    .kernarg_segment_size: 304
    .language:       OpenCL C
    .language_version:
      - 2
      - 0
    .max_flat_workgroup_size: 256
    .name:           _ZL40rocblas_copy_triangular_syrk_herk_kernelILb0ELb0ELb0E19rocblas_complex_numIfEPKPS1_Li16ELi16EEviT3_ilPT2_i
    .private_segment_fixed_size: 0
    .sgpr_count:     18
    .sgpr_spill_count: 0
    .symbol:         _ZL40rocblas_copy_triangular_syrk_herk_kernelILb0ELb0ELb0E19rocblas_complex_numIfEPKPS1_Li16ELi16EEviT3_ilPT2_i.kd
    .uniform_work_group_size: 1
    .uses_dynamic_stack: false
    .vgpr_count:     6
    .vgpr_spill_count: 0
    .wavefront_size: 32
    .workgroup_processor_mode: 1
  - .args:
      - .offset:         0
        .size:           4
        .value_kind:     by_value
      - .address_space:  global
        .offset:         8
        .size:           8
        .value_kind:     global_buffer
      - .offset:         16
        .size:           4
        .value_kind:     by_value
      - .offset:         24
        .size:           8
        .value_kind:     by_value
      - .address_space:  global
        .offset:         32
        .size:           8
        .value_kind:     global_buffer
      - .offset:         40
        .size:           4
        .value_kind:     by_value
      - .offset:         48
        .size:           4
        .value_kind:     hidden_block_count_x
      - .offset:         52
        .size:           4
        .value_kind:     hidden_block_count_y
      - .offset:         56
        .size:           4
        .value_kind:     hidden_block_count_z
      - .offset:         60
        .size:           2
        .value_kind:     hidden_group_size_x
      - .offset:         62
        .size:           2
        .value_kind:     hidden_group_size_y
      - .offset:         64
        .size:           2
        .value_kind:     hidden_group_size_z
      - .offset:         66
        .size:           2
        .value_kind:     hidden_remainder_x
      - .offset:         68
        .size:           2
        .value_kind:     hidden_remainder_y
      - .offset:         70
        .size:           2
        .value_kind:     hidden_remainder_z
      - .offset:         88
        .size:           8
        .value_kind:     hidden_global_offset_x
      - .offset:         96
        .size:           8
        .value_kind:     hidden_global_offset_y
      - .offset:         104
        .size:           8
        .value_kind:     hidden_global_offset_z
      - .offset:         112
        .size:           2
        .value_kind:     hidden_grid_dims
    .group_segment_fixed_size: 0
    .kernarg_segment_align: 8
    .kernarg_segment_size: 304
    .language:       OpenCL C
    .language_version:
      - 2
      - 0
    .max_flat_workgroup_size: 256
    .name:           _ZL40rocblas_copy_triangular_syrk_herk_kernelILb1ELb1ELb0E19rocblas_complex_numIdEPKPS1_Li16ELi16EEviT3_ilPT2_i
    .private_segment_fixed_size: 0
    .sgpr_count:     18
    .sgpr_spill_count: 0
    .symbol:         _ZL40rocblas_copy_triangular_syrk_herk_kernelILb1ELb1ELb0E19rocblas_complex_numIdEPKPS1_Li16ELi16EEviT3_ilPT2_i.kd
    .uniform_work_group_size: 1
    .uses_dynamic_stack: false
    .vgpr_count:     8
    .vgpr_spill_count: 0
    .wavefront_size: 32
    .workgroup_processor_mode: 1
  - .args:
      - .offset:         0
        .size:           4
        .value_kind:     by_value
      - .address_space:  global
        .offset:         8
        .size:           8
        .value_kind:     global_buffer
      - .offset:         16
        .size:           4
        .value_kind:     by_value
      - .offset:         24
        .size:           8
        .value_kind:     by_value
      - .address_space:  global
        .offset:         32
        .size:           8
        .value_kind:     global_buffer
      - .offset:         40
        .size:           4
        .value_kind:     by_value
      - .offset:         48
        .size:           4
        .value_kind:     hidden_block_count_x
      - .offset:         52
        .size:           4
        .value_kind:     hidden_block_count_y
      - .offset:         56
        .size:           4
        .value_kind:     hidden_block_count_z
      - .offset:         60
        .size:           2
        .value_kind:     hidden_group_size_x
      - .offset:         62
        .size:           2
        .value_kind:     hidden_group_size_y
      - .offset:         64
        .size:           2
        .value_kind:     hidden_group_size_z
      - .offset:         66
        .size:           2
        .value_kind:     hidden_remainder_x
      - .offset:         68
        .size:           2
        .value_kind:     hidden_remainder_y
      - .offset:         70
        .size:           2
        .value_kind:     hidden_remainder_z
      - .offset:         88
        .size:           8
        .value_kind:     hidden_global_offset_x
      - .offset:         96
        .size:           8
        .value_kind:     hidden_global_offset_y
      - .offset:         104
        .size:           8
        .value_kind:     hidden_global_offset_z
      - .offset:         112
        .size:           2
        .value_kind:     hidden_grid_dims
    .group_segment_fixed_size: 0
    .kernarg_segment_align: 8
    .kernarg_segment_size: 304
    .language:       OpenCL C
    .language_version:
      - 2
      - 0
    .max_flat_workgroup_size: 256
    .name:           _ZL40rocblas_copy_triangular_syrk_herk_kernelILb1ELb0ELb0E19rocblas_complex_numIdEPKPS1_Li16ELi16EEviT3_ilPT2_i
    .private_segment_fixed_size: 0
    .sgpr_count:     18
    .sgpr_spill_count: 0
    .symbol:         _ZL40rocblas_copy_triangular_syrk_herk_kernelILb1ELb0ELb0E19rocblas_complex_numIdEPKPS1_Li16ELi16EEviT3_ilPT2_i.kd
    .uniform_work_group_size: 1
    .uses_dynamic_stack: false
    .vgpr_count:     8
    .vgpr_spill_count: 0
    .wavefront_size: 32
    .workgroup_processor_mode: 1
  - .args:
      - .offset:         0
        .size:           4
        .value_kind:     by_value
      - .address_space:  global
        .offset:         8
        .size:           8
        .value_kind:     global_buffer
      - .offset:         16
        .size:           4
        .value_kind:     by_value
      - .offset:         24
        .size:           8
        .value_kind:     by_value
      - .address_space:  global
        .offset:         32
        .size:           8
        .value_kind:     global_buffer
      - .offset:         40
        .size:           4
        .value_kind:     by_value
      - .offset:         48
        .size:           4
        .value_kind:     hidden_block_count_x
      - .offset:         52
        .size:           4
        .value_kind:     hidden_block_count_y
      - .offset:         56
        .size:           4
        .value_kind:     hidden_block_count_z
      - .offset:         60
        .size:           2
        .value_kind:     hidden_group_size_x
      - .offset:         62
        .size:           2
        .value_kind:     hidden_group_size_y
      - .offset:         64
        .size:           2
        .value_kind:     hidden_group_size_z
      - .offset:         66
        .size:           2
        .value_kind:     hidden_remainder_x
      - .offset:         68
        .size:           2
        .value_kind:     hidden_remainder_y
      - .offset:         70
        .size:           2
        .value_kind:     hidden_remainder_z
      - .offset:         88
        .size:           8
        .value_kind:     hidden_global_offset_x
      - .offset:         96
        .size:           8
        .value_kind:     hidden_global_offset_y
      - .offset:         104
        .size:           8
        .value_kind:     hidden_global_offset_z
      - .offset:         112
        .size:           2
        .value_kind:     hidden_grid_dims
    .group_segment_fixed_size: 0
    .kernarg_segment_align: 8
    .kernarg_segment_size: 304
    .language:       OpenCL C
    .language_version:
      - 2
      - 0
    .max_flat_workgroup_size: 256
    .name:           _ZL40rocblas_copy_triangular_syrk_herk_kernelILb0ELb1ELb0E19rocblas_complex_numIdEPKPS1_Li16ELi16EEviT3_ilPT2_i
    .private_segment_fixed_size: 0
    .sgpr_count:     18
    .sgpr_spill_count: 0
    .symbol:         _ZL40rocblas_copy_triangular_syrk_herk_kernelILb0ELb1ELb0E19rocblas_complex_numIdEPKPS1_Li16ELi16EEviT3_ilPT2_i.kd
    .uniform_work_group_size: 1
    .uses_dynamic_stack: false
    .vgpr_count:     8
    .vgpr_spill_count: 0
    .wavefront_size: 32
    .workgroup_processor_mode: 1
  - .args:
      - .offset:         0
        .size:           4
        .value_kind:     by_value
      - .address_space:  global
        .offset:         8
        .size:           8
        .value_kind:     global_buffer
      - .offset:         16
        .size:           4
        .value_kind:     by_value
      - .offset:         24
        .size:           8
        .value_kind:     by_value
      - .address_space:  global
        .offset:         32
        .size:           8
        .value_kind:     global_buffer
      - .offset:         40
        .size:           4
        .value_kind:     by_value
      - .offset:         48
        .size:           4
        .value_kind:     hidden_block_count_x
      - .offset:         52
        .size:           4
        .value_kind:     hidden_block_count_y
      - .offset:         56
        .size:           4
        .value_kind:     hidden_block_count_z
      - .offset:         60
        .size:           2
        .value_kind:     hidden_group_size_x
      - .offset:         62
        .size:           2
        .value_kind:     hidden_group_size_y
      - .offset:         64
        .size:           2
        .value_kind:     hidden_group_size_z
      - .offset:         66
        .size:           2
        .value_kind:     hidden_remainder_x
      - .offset:         68
        .size:           2
        .value_kind:     hidden_remainder_y
      - .offset:         70
        .size:           2
        .value_kind:     hidden_remainder_z
      - .offset:         88
        .size:           8
        .value_kind:     hidden_global_offset_x
      - .offset:         96
        .size:           8
        .value_kind:     hidden_global_offset_y
      - .offset:         104
        .size:           8
        .value_kind:     hidden_global_offset_z
      - .offset:         112
        .size:           2
        .value_kind:     hidden_grid_dims
    .group_segment_fixed_size: 0
    .kernarg_segment_align: 8
    .kernarg_segment_size: 304
    .language:       OpenCL C
    .language_version:
      - 2
      - 0
    .max_flat_workgroup_size: 256
    .name:           _ZL40rocblas_copy_triangular_syrk_herk_kernelILb0ELb0ELb0E19rocblas_complex_numIdEPKPS1_Li16ELi16EEviT3_ilPT2_i
    .private_segment_fixed_size: 0
    .sgpr_count:     18
    .sgpr_spill_count: 0
    .symbol:         _ZL40rocblas_copy_triangular_syrk_herk_kernelILb0ELb0ELb0E19rocblas_complex_numIdEPKPS1_Li16ELi16EEviT3_ilPT2_i.kd
    .uniform_work_group_size: 1
    .uses_dynamic_stack: false
    .vgpr_count:     8
    .vgpr_spill_count: 0
    .wavefront_size: 32
    .workgroup_processor_mode: 1
  - .args:
      - .offset:         0
        .size:           4
        .value_kind:     by_value
      - .address_space:  global
        .offset:         8
        .size:           8
        .value_kind:     global_buffer
      - .offset:         16
        .size:           4
        .value_kind:     by_value
      - .offset:         24
        .size:           8
        .value_kind:     by_value
      - .address_space:  global
        .offset:         32
        .size:           8
        .value_kind:     global_buffer
      - .offset:         40
        .size:           4
        .value_kind:     by_value
      - .offset:         48
        .size:           4
        .value_kind:     hidden_block_count_x
      - .offset:         52
        .size:           4
        .value_kind:     hidden_block_count_y
      - .offset:         56
        .size:           4
        .value_kind:     hidden_block_count_z
      - .offset:         60
        .size:           2
        .value_kind:     hidden_group_size_x
      - .offset:         62
        .size:           2
        .value_kind:     hidden_group_size_y
      - .offset:         64
        .size:           2
        .value_kind:     hidden_group_size_z
      - .offset:         66
        .size:           2
        .value_kind:     hidden_remainder_x
      - .offset:         68
        .size:           2
        .value_kind:     hidden_remainder_y
      - .offset:         70
        .size:           2
        .value_kind:     hidden_remainder_z
      - .offset:         88
        .size:           8
        .value_kind:     hidden_global_offset_x
      - .offset:         96
        .size:           8
        .value_kind:     hidden_global_offset_y
      - .offset:         104
        .size:           8
        .value_kind:     hidden_global_offset_z
      - .offset:         112
        .size:           2
        .value_kind:     hidden_grid_dims
    .group_segment_fixed_size: 0
    .kernarg_segment_align: 8
    .kernarg_segment_size: 304
    .language:       OpenCL C
    .language_version:
      - 2
      - 0
    .max_flat_workgroup_size: 256
    .name:           _ZL40rocblas_copy_triangular_syrk_herk_kernelILb1ELb1ELb1E19rocblas_complex_numIfEPS1_Li16ELi16EEviT3_ilPT2_i
    .private_segment_fixed_size: 0
    .sgpr_count:     18
    .sgpr_spill_count: 0
    .symbol:         _ZL40rocblas_copy_triangular_syrk_herk_kernelILb1ELb1ELb1E19rocblas_complex_numIfEPS1_Li16ELi16EEviT3_ilPT2_i.kd
    .uniform_work_group_size: 1
    .uses_dynamic_stack: false
    .vgpr_count:     8
    .vgpr_spill_count: 0
    .wavefront_size: 32
    .workgroup_processor_mode: 1
  - .args:
      - .offset:         0
        .size:           4
        .value_kind:     by_value
      - .address_space:  global
        .offset:         8
        .size:           8
        .value_kind:     global_buffer
      - .offset:         16
        .size:           4
        .value_kind:     by_value
      - .offset:         24
        .size:           8
        .value_kind:     by_value
      - .address_space:  global
        .offset:         32
        .size:           8
        .value_kind:     global_buffer
      - .offset:         40
        .size:           4
        .value_kind:     by_value
      - .offset:         48
        .size:           4
        .value_kind:     hidden_block_count_x
      - .offset:         52
        .size:           4
        .value_kind:     hidden_block_count_y
      - .offset:         56
        .size:           4
        .value_kind:     hidden_block_count_z
      - .offset:         60
        .size:           2
        .value_kind:     hidden_group_size_x
      - .offset:         62
        .size:           2
        .value_kind:     hidden_group_size_y
      - .offset:         64
        .size:           2
        .value_kind:     hidden_group_size_z
      - .offset:         66
        .size:           2
        .value_kind:     hidden_remainder_x
      - .offset:         68
        .size:           2
        .value_kind:     hidden_remainder_y
      - .offset:         70
        .size:           2
        .value_kind:     hidden_remainder_z
      - .offset:         88
        .size:           8
        .value_kind:     hidden_global_offset_x
      - .offset:         96
        .size:           8
        .value_kind:     hidden_global_offset_y
      - .offset:         104
        .size:           8
        .value_kind:     hidden_global_offset_z
      - .offset:         112
        .size:           2
        .value_kind:     hidden_grid_dims
    .group_segment_fixed_size: 0
    .kernarg_segment_align: 8
    .kernarg_segment_size: 304
    .language:       OpenCL C
    .language_version:
      - 2
      - 0
    .max_flat_workgroup_size: 256
    .name:           _ZL40rocblas_copy_triangular_syrk_herk_kernelILb1ELb0ELb1E19rocblas_complex_numIfEPS1_Li16ELi16EEviT3_ilPT2_i
    .private_segment_fixed_size: 0
    .sgpr_count:     18
    .sgpr_spill_count: 0
    .symbol:         _ZL40rocblas_copy_triangular_syrk_herk_kernelILb1ELb0ELb1E19rocblas_complex_numIfEPS1_Li16ELi16EEviT3_ilPT2_i.kd
    .uniform_work_group_size: 1
    .uses_dynamic_stack: false
    .vgpr_count:     8
    .vgpr_spill_count: 0
    .wavefront_size: 32
    .workgroup_processor_mode: 1
  - .args:
      - .offset:         0
        .size:           4
        .value_kind:     by_value
      - .address_space:  global
        .offset:         8
        .size:           8
        .value_kind:     global_buffer
      - .offset:         16
        .size:           4
        .value_kind:     by_value
      - .offset:         24
        .size:           8
        .value_kind:     by_value
      - .address_space:  global
        .offset:         32
        .size:           8
        .value_kind:     global_buffer
      - .offset:         40
        .size:           4
        .value_kind:     by_value
      - .offset:         48
        .size:           4
        .value_kind:     hidden_block_count_x
      - .offset:         52
        .size:           4
        .value_kind:     hidden_block_count_y
      - .offset:         56
        .size:           4
        .value_kind:     hidden_block_count_z
      - .offset:         60
        .size:           2
        .value_kind:     hidden_group_size_x
      - .offset:         62
        .size:           2
        .value_kind:     hidden_group_size_y
      - .offset:         64
        .size:           2
        .value_kind:     hidden_group_size_z
      - .offset:         66
        .size:           2
        .value_kind:     hidden_remainder_x
      - .offset:         68
        .size:           2
        .value_kind:     hidden_remainder_y
      - .offset:         70
        .size:           2
        .value_kind:     hidden_remainder_z
      - .offset:         88
        .size:           8
        .value_kind:     hidden_global_offset_x
      - .offset:         96
        .size:           8
        .value_kind:     hidden_global_offset_y
      - .offset:         104
        .size:           8
        .value_kind:     hidden_global_offset_z
      - .offset:         112
        .size:           2
        .value_kind:     hidden_grid_dims
    .group_segment_fixed_size: 0
    .kernarg_segment_align: 8
    .kernarg_segment_size: 304
    .language:       OpenCL C
    .language_version:
      - 2
      - 0
    .max_flat_workgroup_size: 256
    .name:           _ZL40rocblas_copy_triangular_syrk_herk_kernelILb0ELb1ELb1E19rocblas_complex_numIfEPS1_Li16ELi16EEviT3_ilPT2_i
    .private_segment_fixed_size: 0
    .sgpr_count:     18
    .sgpr_spill_count: 0
    .symbol:         _ZL40rocblas_copy_triangular_syrk_herk_kernelILb0ELb1ELb1E19rocblas_complex_numIfEPS1_Li16ELi16EEviT3_ilPT2_i.kd
    .uniform_work_group_size: 1
    .uses_dynamic_stack: false
    .vgpr_count:     9
    .vgpr_spill_count: 0
    .wavefront_size: 32
    .workgroup_processor_mode: 1
  - .args:
      - .offset:         0
        .size:           4
        .value_kind:     by_value
      - .address_space:  global
        .offset:         8
        .size:           8
        .value_kind:     global_buffer
      - .offset:         16
        .size:           4
        .value_kind:     by_value
      - .offset:         24
        .size:           8
        .value_kind:     by_value
      - .address_space:  global
        .offset:         32
        .size:           8
        .value_kind:     global_buffer
      - .offset:         40
        .size:           4
        .value_kind:     by_value
      - .offset:         48
        .size:           4
        .value_kind:     hidden_block_count_x
      - .offset:         52
        .size:           4
        .value_kind:     hidden_block_count_y
      - .offset:         56
        .size:           4
        .value_kind:     hidden_block_count_z
      - .offset:         60
        .size:           2
        .value_kind:     hidden_group_size_x
      - .offset:         62
        .size:           2
        .value_kind:     hidden_group_size_y
      - .offset:         64
        .size:           2
        .value_kind:     hidden_group_size_z
      - .offset:         66
        .size:           2
        .value_kind:     hidden_remainder_x
      - .offset:         68
        .size:           2
        .value_kind:     hidden_remainder_y
      - .offset:         70
        .size:           2
        .value_kind:     hidden_remainder_z
      - .offset:         88
        .size:           8
        .value_kind:     hidden_global_offset_x
      - .offset:         96
        .size:           8
        .value_kind:     hidden_global_offset_y
      - .offset:         104
        .size:           8
        .value_kind:     hidden_global_offset_z
      - .offset:         112
        .size:           2
        .value_kind:     hidden_grid_dims
    .group_segment_fixed_size: 0
    .kernarg_segment_align: 8
    .kernarg_segment_size: 304
    .language:       OpenCL C
    .language_version:
      - 2
      - 0
    .max_flat_workgroup_size: 256
    .name:           _ZL40rocblas_copy_triangular_syrk_herk_kernelILb0ELb0ELb1E19rocblas_complex_numIfEPS1_Li16ELi16EEviT3_ilPT2_i
    .private_segment_fixed_size: 0
    .sgpr_count:     18
    .sgpr_spill_count: 0
    .symbol:         _ZL40rocblas_copy_triangular_syrk_herk_kernelILb0ELb0ELb1E19rocblas_complex_numIfEPS1_Li16ELi16EEviT3_ilPT2_i.kd
    .uniform_work_group_size: 1
    .uses_dynamic_stack: false
    .vgpr_count:     9
    .vgpr_spill_count: 0
    .wavefront_size: 32
    .workgroup_processor_mode: 1
  - .args:
      - .offset:         0
        .size:           4
        .value_kind:     by_value
      - .address_space:  global
        .offset:         8
        .size:           8
        .value_kind:     global_buffer
      - .offset:         16
        .size:           4
        .value_kind:     by_value
      - .offset:         24
        .size:           8
        .value_kind:     by_value
      - .address_space:  global
        .offset:         32
        .size:           8
        .value_kind:     global_buffer
      - .offset:         40
        .size:           4
        .value_kind:     by_value
      - .offset:         48
        .size:           4
        .value_kind:     hidden_block_count_x
      - .offset:         52
        .size:           4
        .value_kind:     hidden_block_count_y
      - .offset:         56
        .size:           4
        .value_kind:     hidden_block_count_z
      - .offset:         60
        .size:           2
        .value_kind:     hidden_group_size_x
      - .offset:         62
        .size:           2
        .value_kind:     hidden_group_size_y
      - .offset:         64
        .size:           2
        .value_kind:     hidden_group_size_z
      - .offset:         66
        .size:           2
        .value_kind:     hidden_remainder_x
      - .offset:         68
        .size:           2
        .value_kind:     hidden_remainder_y
      - .offset:         70
        .size:           2
        .value_kind:     hidden_remainder_z
      - .offset:         88
        .size:           8
        .value_kind:     hidden_global_offset_x
      - .offset:         96
        .size:           8
        .value_kind:     hidden_global_offset_y
      - .offset:         104
        .size:           8
        .value_kind:     hidden_global_offset_z
      - .offset:         112
        .size:           2
        .value_kind:     hidden_grid_dims
    .group_segment_fixed_size: 0
    .kernarg_segment_align: 8
    .kernarg_segment_size: 304
    .language:       OpenCL C
    .language_version:
      - 2
      - 0
    .max_flat_workgroup_size: 256
    .name:           _ZL40rocblas_copy_triangular_syrk_herk_kernelILb1ELb1ELb1E19rocblas_complex_numIdEPS1_Li16ELi16EEviT3_ilPT2_i
    .private_segment_fixed_size: 0
    .sgpr_count:     18
    .sgpr_spill_count: 0
    .symbol:         _ZL40rocblas_copy_triangular_syrk_herk_kernelILb1ELb1ELb1E19rocblas_complex_numIdEPS1_Li16ELi16EEviT3_ilPT2_i.kd
    .uniform_work_group_size: 1
    .uses_dynamic_stack: false
    .vgpr_count:     8
    .vgpr_spill_count: 0
    .wavefront_size: 32
    .workgroup_processor_mode: 1
  - .args:
      - .offset:         0
        .size:           4
        .value_kind:     by_value
      - .address_space:  global
        .offset:         8
        .size:           8
        .value_kind:     global_buffer
      - .offset:         16
        .size:           4
        .value_kind:     by_value
      - .offset:         24
        .size:           8
        .value_kind:     by_value
      - .address_space:  global
        .offset:         32
        .size:           8
        .value_kind:     global_buffer
      - .offset:         40
        .size:           4
        .value_kind:     by_value
      - .offset:         48
        .size:           4
        .value_kind:     hidden_block_count_x
      - .offset:         52
        .size:           4
        .value_kind:     hidden_block_count_y
      - .offset:         56
        .size:           4
        .value_kind:     hidden_block_count_z
      - .offset:         60
        .size:           2
        .value_kind:     hidden_group_size_x
      - .offset:         62
        .size:           2
        .value_kind:     hidden_group_size_y
      - .offset:         64
        .size:           2
        .value_kind:     hidden_group_size_z
      - .offset:         66
        .size:           2
        .value_kind:     hidden_remainder_x
      - .offset:         68
        .size:           2
        .value_kind:     hidden_remainder_y
      - .offset:         70
        .size:           2
        .value_kind:     hidden_remainder_z
      - .offset:         88
        .size:           8
        .value_kind:     hidden_global_offset_x
      - .offset:         96
        .size:           8
        .value_kind:     hidden_global_offset_y
      - .offset:         104
        .size:           8
        .value_kind:     hidden_global_offset_z
      - .offset:         112
        .size:           2
        .value_kind:     hidden_grid_dims
    .group_segment_fixed_size: 0
    .kernarg_segment_align: 8
    .kernarg_segment_size: 304
    .language:       OpenCL C
    .language_version:
      - 2
      - 0
    .max_flat_workgroup_size: 256
    .name:           _ZL40rocblas_copy_triangular_syrk_herk_kernelILb1ELb0ELb1E19rocblas_complex_numIdEPS1_Li16ELi16EEviT3_ilPT2_i
    .private_segment_fixed_size: 0
    .sgpr_count:     18
    .sgpr_spill_count: 0
    .symbol:         _ZL40rocblas_copy_triangular_syrk_herk_kernelILb1ELb0ELb1E19rocblas_complex_numIdEPS1_Li16ELi16EEviT3_ilPT2_i.kd
    .uniform_work_group_size: 1
    .uses_dynamic_stack: false
    .vgpr_count:     8
    .vgpr_spill_count: 0
    .wavefront_size: 32
    .workgroup_processor_mode: 1
  - .args:
      - .offset:         0
        .size:           4
        .value_kind:     by_value
      - .address_space:  global
        .offset:         8
        .size:           8
        .value_kind:     global_buffer
      - .offset:         16
        .size:           4
        .value_kind:     by_value
      - .offset:         24
        .size:           8
        .value_kind:     by_value
      - .address_space:  global
        .offset:         32
        .size:           8
        .value_kind:     global_buffer
      - .offset:         40
        .size:           4
        .value_kind:     by_value
      - .offset:         48
        .size:           4
        .value_kind:     hidden_block_count_x
      - .offset:         52
        .size:           4
        .value_kind:     hidden_block_count_y
      - .offset:         56
        .size:           4
        .value_kind:     hidden_block_count_z
      - .offset:         60
        .size:           2
        .value_kind:     hidden_group_size_x
      - .offset:         62
        .size:           2
        .value_kind:     hidden_group_size_y
      - .offset:         64
        .size:           2
        .value_kind:     hidden_group_size_z
      - .offset:         66
        .size:           2
        .value_kind:     hidden_remainder_x
      - .offset:         68
        .size:           2
        .value_kind:     hidden_remainder_y
      - .offset:         70
        .size:           2
        .value_kind:     hidden_remainder_z
      - .offset:         88
        .size:           8
        .value_kind:     hidden_global_offset_x
      - .offset:         96
        .size:           8
        .value_kind:     hidden_global_offset_y
      - .offset:         104
        .size:           8
        .value_kind:     hidden_global_offset_z
      - .offset:         112
        .size:           2
        .value_kind:     hidden_grid_dims
    .group_segment_fixed_size: 0
    .kernarg_segment_align: 8
    .kernarg_segment_size: 304
    .language:       OpenCL C
    .language_version:
      - 2
      - 0
    .max_flat_workgroup_size: 256
    .name:           _ZL40rocblas_copy_triangular_syrk_herk_kernelILb0ELb1ELb1E19rocblas_complex_numIdEPS1_Li16ELi16EEviT3_ilPT2_i
    .private_segment_fixed_size: 0
    .sgpr_count:     18
    .sgpr_spill_count: 0
    .symbol:         _ZL40rocblas_copy_triangular_syrk_herk_kernelILb0ELb1ELb1E19rocblas_complex_numIdEPS1_Li16ELi16EEviT3_ilPT2_i.kd
    .uniform_work_group_size: 1
    .uses_dynamic_stack: false
    .vgpr_count:     11
    .vgpr_spill_count: 0
    .wavefront_size: 32
    .workgroup_processor_mode: 1
  - .args:
      - .offset:         0
        .size:           4
        .value_kind:     by_value
      - .address_space:  global
        .offset:         8
        .size:           8
        .value_kind:     global_buffer
      - .offset:         16
        .size:           4
        .value_kind:     by_value
      - .offset:         24
        .size:           8
        .value_kind:     by_value
      - .address_space:  global
        .offset:         32
        .size:           8
        .value_kind:     global_buffer
      - .offset:         40
        .size:           4
        .value_kind:     by_value
      - .offset:         48
        .size:           4
        .value_kind:     hidden_block_count_x
      - .offset:         52
        .size:           4
        .value_kind:     hidden_block_count_y
      - .offset:         56
        .size:           4
        .value_kind:     hidden_block_count_z
      - .offset:         60
        .size:           2
        .value_kind:     hidden_group_size_x
      - .offset:         62
        .size:           2
        .value_kind:     hidden_group_size_y
      - .offset:         64
        .size:           2
        .value_kind:     hidden_group_size_z
      - .offset:         66
        .size:           2
        .value_kind:     hidden_remainder_x
      - .offset:         68
        .size:           2
        .value_kind:     hidden_remainder_y
      - .offset:         70
        .size:           2
        .value_kind:     hidden_remainder_z
      - .offset:         88
        .size:           8
        .value_kind:     hidden_global_offset_x
      - .offset:         96
        .size:           8
        .value_kind:     hidden_global_offset_y
      - .offset:         104
        .size:           8
        .value_kind:     hidden_global_offset_z
      - .offset:         112
        .size:           2
        .value_kind:     hidden_grid_dims
    .group_segment_fixed_size: 0
    .kernarg_segment_align: 8
    .kernarg_segment_size: 304
    .language:       OpenCL C
    .language_version:
      - 2
      - 0
    .max_flat_workgroup_size: 256
    .name:           _ZL40rocblas_copy_triangular_syrk_herk_kernelILb0ELb0ELb1E19rocblas_complex_numIdEPS1_Li16ELi16EEviT3_ilPT2_i
    .private_segment_fixed_size: 0
    .sgpr_count:     18
    .sgpr_spill_count: 0
    .symbol:         _ZL40rocblas_copy_triangular_syrk_herk_kernelILb0ELb0ELb1E19rocblas_complex_numIdEPS1_Li16ELi16EEviT3_ilPT2_i.kd
    .uniform_work_group_size: 1
    .uses_dynamic_stack: false
    .vgpr_count:     11
    .vgpr_spill_count: 0
    .wavefront_size: 32
    .workgroup_processor_mode: 1
  - .args:
      - .offset:         0
        .size:           4
        .value_kind:     by_value
      - .address_space:  global
        .offset:         8
        .size:           8
        .value_kind:     global_buffer
      - .offset:         16
        .size:           4
        .value_kind:     by_value
      - .offset:         24
        .size:           8
        .value_kind:     by_value
      - .address_space:  global
        .offset:         32
        .size:           8
        .value_kind:     global_buffer
      - .offset:         40
        .size:           4
        .value_kind:     by_value
      - .offset:         48
        .size:           4
        .value_kind:     hidden_block_count_x
      - .offset:         52
        .size:           4
        .value_kind:     hidden_block_count_y
      - .offset:         56
        .size:           4
        .value_kind:     hidden_block_count_z
      - .offset:         60
        .size:           2
        .value_kind:     hidden_group_size_x
      - .offset:         62
        .size:           2
        .value_kind:     hidden_group_size_y
      - .offset:         64
        .size:           2
        .value_kind:     hidden_group_size_z
      - .offset:         66
        .size:           2
        .value_kind:     hidden_remainder_x
      - .offset:         68
        .size:           2
        .value_kind:     hidden_remainder_y
      - .offset:         70
        .size:           2
        .value_kind:     hidden_remainder_z
      - .offset:         88
        .size:           8
        .value_kind:     hidden_global_offset_x
      - .offset:         96
        .size:           8
        .value_kind:     hidden_global_offset_y
      - .offset:         104
        .size:           8
        .value_kind:     hidden_global_offset_z
      - .offset:         112
        .size:           2
        .value_kind:     hidden_grid_dims
    .group_segment_fixed_size: 0
    .kernarg_segment_align: 8
    .kernarg_segment_size: 304
    .language:       OpenCL C
    .language_version:
      - 2
      - 0
    .max_flat_workgroup_size: 256
    .name:           _ZL40rocblas_copy_triangular_syrk_herk_kernelILb1ELb1ELb1E19rocblas_complex_numIfEPKPS1_Li16ELi16EEviT3_ilPT2_i
    .private_segment_fixed_size: 0
    .sgpr_count:     18
    .sgpr_spill_count: 0
    .symbol:         _ZL40rocblas_copy_triangular_syrk_herk_kernelILb1ELb1ELb1E19rocblas_complex_numIfEPKPS1_Li16ELi16EEviT3_ilPT2_i.kd
    .uniform_work_group_size: 1
    .uses_dynamic_stack: false
    .vgpr_count:     8
    .vgpr_spill_count: 0
    .wavefront_size: 32
    .workgroup_processor_mode: 1
  - .args:
      - .offset:         0
        .size:           4
        .value_kind:     by_value
      - .address_space:  global
        .offset:         8
        .size:           8
        .value_kind:     global_buffer
      - .offset:         16
        .size:           4
        .value_kind:     by_value
      - .offset:         24
        .size:           8
        .value_kind:     by_value
      - .address_space:  global
        .offset:         32
        .size:           8
        .value_kind:     global_buffer
      - .offset:         40
        .size:           4
        .value_kind:     by_value
      - .offset:         48
        .size:           4
        .value_kind:     hidden_block_count_x
      - .offset:         52
        .size:           4
        .value_kind:     hidden_block_count_y
      - .offset:         56
        .size:           4
        .value_kind:     hidden_block_count_z
      - .offset:         60
        .size:           2
        .value_kind:     hidden_group_size_x
      - .offset:         62
        .size:           2
        .value_kind:     hidden_group_size_y
      - .offset:         64
        .size:           2
        .value_kind:     hidden_group_size_z
      - .offset:         66
        .size:           2
        .value_kind:     hidden_remainder_x
      - .offset:         68
        .size:           2
        .value_kind:     hidden_remainder_y
      - .offset:         70
        .size:           2
        .value_kind:     hidden_remainder_z
      - .offset:         88
        .size:           8
        .value_kind:     hidden_global_offset_x
      - .offset:         96
        .size:           8
        .value_kind:     hidden_global_offset_y
      - .offset:         104
        .size:           8
        .value_kind:     hidden_global_offset_z
      - .offset:         112
        .size:           2
        .value_kind:     hidden_grid_dims
    .group_segment_fixed_size: 0
    .kernarg_segment_align: 8
    .kernarg_segment_size: 304
    .language:       OpenCL C
    .language_version:
      - 2
      - 0
    .max_flat_workgroup_size: 256
    .name:           _ZL40rocblas_copy_triangular_syrk_herk_kernelILb1ELb0ELb1E19rocblas_complex_numIfEPKPS1_Li16ELi16EEviT3_ilPT2_i
    .private_segment_fixed_size: 0
    .sgpr_count:     18
    .sgpr_spill_count: 0
    .symbol:         _ZL40rocblas_copy_triangular_syrk_herk_kernelILb1ELb0ELb1E19rocblas_complex_numIfEPKPS1_Li16ELi16EEviT3_ilPT2_i.kd
    .uniform_work_group_size: 1
    .uses_dynamic_stack: false
    .vgpr_count:     8
    .vgpr_spill_count: 0
    .wavefront_size: 32
    .workgroup_processor_mode: 1
  - .args:
      - .offset:         0
        .size:           4
        .value_kind:     by_value
      - .address_space:  global
        .offset:         8
        .size:           8
        .value_kind:     global_buffer
      - .offset:         16
        .size:           4
        .value_kind:     by_value
      - .offset:         24
        .size:           8
        .value_kind:     by_value
      - .address_space:  global
        .offset:         32
        .size:           8
        .value_kind:     global_buffer
      - .offset:         40
        .size:           4
        .value_kind:     by_value
      - .offset:         48
        .size:           4
        .value_kind:     hidden_block_count_x
      - .offset:         52
        .size:           4
        .value_kind:     hidden_block_count_y
      - .offset:         56
        .size:           4
        .value_kind:     hidden_block_count_z
      - .offset:         60
        .size:           2
        .value_kind:     hidden_group_size_x
      - .offset:         62
        .size:           2
        .value_kind:     hidden_group_size_y
      - .offset:         64
        .size:           2
        .value_kind:     hidden_group_size_z
      - .offset:         66
        .size:           2
        .value_kind:     hidden_remainder_x
      - .offset:         68
        .size:           2
        .value_kind:     hidden_remainder_y
      - .offset:         70
        .size:           2
        .value_kind:     hidden_remainder_z
      - .offset:         88
        .size:           8
        .value_kind:     hidden_global_offset_x
      - .offset:         96
        .size:           8
        .value_kind:     hidden_global_offset_y
      - .offset:         104
        .size:           8
        .value_kind:     hidden_global_offset_z
      - .offset:         112
        .size:           2
        .value_kind:     hidden_grid_dims
    .group_segment_fixed_size: 0
    .kernarg_segment_align: 8
    .kernarg_segment_size: 304
    .language:       OpenCL C
    .language_version:
      - 2
      - 0
    .max_flat_workgroup_size: 256
    .name:           _ZL40rocblas_copy_triangular_syrk_herk_kernelILb0ELb1ELb1E19rocblas_complex_numIfEPKPS1_Li16ELi16EEviT3_ilPT2_i
    .private_segment_fixed_size: 0
    .sgpr_count:     18
    .sgpr_spill_count: 0
    .symbol:         _ZL40rocblas_copy_triangular_syrk_herk_kernelILb0ELb1ELb1E19rocblas_complex_numIfEPKPS1_Li16ELi16EEviT3_ilPT2_i.kd
    .uniform_work_group_size: 1
    .uses_dynamic_stack: false
    .vgpr_count:     9
    .vgpr_spill_count: 0
    .wavefront_size: 32
    .workgroup_processor_mode: 1
  - .args:
      - .offset:         0
        .size:           4
        .value_kind:     by_value
      - .address_space:  global
        .offset:         8
        .size:           8
        .value_kind:     global_buffer
      - .offset:         16
        .size:           4
        .value_kind:     by_value
      - .offset:         24
        .size:           8
        .value_kind:     by_value
      - .address_space:  global
        .offset:         32
        .size:           8
        .value_kind:     global_buffer
      - .offset:         40
        .size:           4
        .value_kind:     by_value
      - .offset:         48
        .size:           4
        .value_kind:     hidden_block_count_x
      - .offset:         52
        .size:           4
        .value_kind:     hidden_block_count_y
      - .offset:         56
        .size:           4
        .value_kind:     hidden_block_count_z
      - .offset:         60
        .size:           2
        .value_kind:     hidden_group_size_x
      - .offset:         62
        .size:           2
        .value_kind:     hidden_group_size_y
      - .offset:         64
        .size:           2
        .value_kind:     hidden_group_size_z
      - .offset:         66
        .size:           2
        .value_kind:     hidden_remainder_x
      - .offset:         68
        .size:           2
        .value_kind:     hidden_remainder_y
      - .offset:         70
        .size:           2
        .value_kind:     hidden_remainder_z
      - .offset:         88
        .size:           8
        .value_kind:     hidden_global_offset_x
      - .offset:         96
        .size:           8
        .value_kind:     hidden_global_offset_y
      - .offset:         104
        .size:           8
        .value_kind:     hidden_global_offset_z
      - .offset:         112
        .size:           2
        .value_kind:     hidden_grid_dims
    .group_segment_fixed_size: 0
    .kernarg_segment_align: 8
    .kernarg_segment_size: 304
    .language:       OpenCL C
    .language_version:
      - 2
      - 0
    .max_flat_workgroup_size: 256
    .name:           _ZL40rocblas_copy_triangular_syrk_herk_kernelILb0ELb0ELb1E19rocblas_complex_numIfEPKPS1_Li16ELi16EEviT3_ilPT2_i
    .private_segment_fixed_size: 0
    .sgpr_count:     18
    .sgpr_spill_count: 0
    .symbol:         _ZL40rocblas_copy_triangular_syrk_herk_kernelILb0ELb0ELb1E19rocblas_complex_numIfEPKPS1_Li16ELi16EEviT3_ilPT2_i.kd
    .uniform_work_group_size: 1
    .uses_dynamic_stack: false
    .vgpr_count:     9
    .vgpr_spill_count: 0
    .wavefront_size: 32
    .workgroup_processor_mode: 1
  - .args:
      - .offset:         0
        .size:           4
        .value_kind:     by_value
      - .address_space:  global
        .offset:         8
        .size:           8
        .value_kind:     global_buffer
      - .offset:         16
        .size:           4
        .value_kind:     by_value
      - .offset:         24
        .size:           8
        .value_kind:     by_value
      - .address_space:  global
        .offset:         32
        .size:           8
        .value_kind:     global_buffer
      - .offset:         40
        .size:           4
        .value_kind:     by_value
      - .offset:         48
        .size:           4
        .value_kind:     hidden_block_count_x
      - .offset:         52
        .size:           4
        .value_kind:     hidden_block_count_y
      - .offset:         56
        .size:           4
        .value_kind:     hidden_block_count_z
      - .offset:         60
        .size:           2
        .value_kind:     hidden_group_size_x
      - .offset:         62
        .size:           2
        .value_kind:     hidden_group_size_y
      - .offset:         64
        .size:           2
        .value_kind:     hidden_group_size_z
      - .offset:         66
        .size:           2
        .value_kind:     hidden_remainder_x
      - .offset:         68
        .size:           2
        .value_kind:     hidden_remainder_y
      - .offset:         70
        .size:           2
        .value_kind:     hidden_remainder_z
      - .offset:         88
        .size:           8
        .value_kind:     hidden_global_offset_x
      - .offset:         96
        .size:           8
        .value_kind:     hidden_global_offset_y
      - .offset:         104
        .size:           8
        .value_kind:     hidden_global_offset_z
      - .offset:         112
        .size:           2
        .value_kind:     hidden_grid_dims
    .group_segment_fixed_size: 0
    .kernarg_segment_align: 8
    .kernarg_segment_size: 304
    .language:       OpenCL C
    .language_version:
      - 2
      - 0
    .max_flat_workgroup_size: 256
    .name:           _ZL40rocblas_copy_triangular_syrk_herk_kernelILb1ELb1ELb1E19rocblas_complex_numIdEPKPS1_Li16ELi16EEviT3_ilPT2_i
    .private_segment_fixed_size: 0
    .sgpr_count:     18
    .sgpr_spill_count: 0
    .symbol:         _ZL40rocblas_copy_triangular_syrk_herk_kernelILb1ELb1ELb1E19rocblas_complex_numIdEPKPS1_Li16ELi16EEviT3_ilPT2_i.kd
    .uniform_work_group_size: 1
    .uses_dynamic_stack: false
    .vgpr_count:     8
    .vgpr_spill_count: 0
    .wavefront_size: 32
    .workgroup_processor_mode: 1
  - .args:
      - .offset:         0
        .size:           4
        .value_kind:     by_value
      - .address_space:  global
        .offset:         8
        .size:           8
        .value_kind:     global_buffer
      - .offset:         16
        .size:           4
        .value_kind:     by_value
      - .offset:         24
        .size:           8
        .value_kind:     by_value
      - .address_space:  global
        .offset:         32
        .size:           8
        .value_kind:     global_buffer
      - .offset:         40
        .size:           4
        .value_kind:     by_value
      - .offset:         48
        .size:           4
        .value_kind:     hidden_block_count_x
      - .offset:         52
        .size:           4
        .value_kind:     hidden_block_count_y
      - .offset:         56
        .size:           4
        .value_kind:     hidden_block_count_z
      - .offset:         60
        .size:           2
        .value_kind:     hidden_group_size_x
      - .offset:         62
        .size:           2
        .value_kind:     hidden_group_size_y
      - .offset:         64
        .size:           2
        .value_kind:     hidden_group_size_z
      - .offset:         66
        .size:           2
        .value_kind:     hidden_remainder_x
      - .offset:         68
        .size:           2
        .value_kind:     hidden_remainder_y
      - .offset:         70
        .size:           2
        .value_kind:     hidden_remainder_z
      - .offset:         88
        .size:           8
        .value_kind:     hidden_global_offset_x
      - .offset:         96
        .size:           8
        .value_kind:     hidden_global_offset_y
      - .offset:         104
        .size:           8
        .value_kind:     hidden_global_offset_z
      - .offset:         112
        .size:           2
        .value_kind:     hidden_grid_dims
    .group_segment_fixed_size: 0
    .kernarg_segment_align: 8
    .kernarg_segment_size: 304
    .language:       OpenCL C
    .language_version:
      - 2
      - 0
    .max_flat_workgroup_size: 256
    .name:           _ZL40rocblas_copy_triangular_syrk_herk_kernelILb1ELb0ELb1E19rocblas_complex_numIdEPKPS1_Li16ELi16EEviT3_ilPT2_i
    .private_segment_fixed_size: 0
    .sgpr_count:     18
    .sgpr_spill_count: 0
    .symbol:         _ZL40rocblas_copy_triangular_syrk_herk_kernelILb1ELb0ELb1E19rocblas_complex_numIdEPKPS1_Li16ELi16EEviT3_ilPT2_i.kd
    .uniform_work_group_size: 1
    .uses_dynamic_stack: false
    .vgpr_count:     8
    .vgpr_spill_count: 0
    .wavefront_size: 32
    .workgroup_processor_mode: 1
  - .args:
      - .offset:         0
        .size:           4
        .value_kind:     by_value
      - .address_space:  global
        .offset:         8
        .size:           8
        .value_kind:     global_buffer
      - .offset:         16
        .size:           4
        .value_kind:     by_value
      - .offset:         24
        .size:           8
        .value_kind:     by_value
      - .address_space:  global
        .offset:         32
        .size:           8
        .value_kind:     global_buffer
      - .offset:         40
        .size:           4
        .value_kind:     by_value
      - .offset:         48
        .size:           4
        .value_kind:     hidden_block_count_x
      - .offset:         52
        .size:           4
        .value_kind:     hidden_block_count_y
      - .offset:         56
        .size:           4
        .value_kind:     hidden_block_count_z
      - .offset:         60
        .size:           2
        .value_kind:     hidden_group_size_x
      - .offset:         62
        .size:           2
        .value_kind:     hidden_group_size_y
      - .offset:         64
        .size:           2
        .value_kind:     hidden_group_size_z
      - .offset:         66
        .size:           2
        .value_kind:     hidden_remainder_x
      - .offset:         68
        .size:           2
        .value_kind:     hidden_remainder_y
      - .offset:         70
        .size:           2
        .value_kind:     hidden_remainder_z
      - .offset:         88
        .size:           8
        .value_kind:     hidden_global_offset_x
      - .offset:         96
        .size:           8
        .value_kind:     hidden_global_offset_y
      - .offset:         104
        .size:           8
        .value_kind:     hidden_global_offset_z
      - .offset:         112
        .size:           2
        .value_kind:     hidden_grid_dims
    .group_segment_fixed_size: 0
    .kernarg_segment_align: 8
    .kernarg_segment_size: 304
    .language:       OpenCL C
    .language_version:
      - 2
      - 0
    .max_flat_workgroup_size: 256
    .name:           _ZL40rocblas_copy_triangular_syrk_herk_kernelILb0ELb1ELb1E19rocblas_complex_numIdEPKPS1_Li16ELi16EEviT3_ilPT2_i
    .private_segment_fixed_size: 0
    .sgpr_count:     18
    .sgpr_spill_count: 0
    .symbol:         _ZL40rocblas_copy_triangular_syrk_herk_kernelILb0ELb1ELb1E19rocblas_complex_numIdEPKPS1_Li16ELi16EEviT3_ilPT2_i.kd
    .uniform_work_group_size: 1
    .uses_dynamic_stack: false
    .vgpr_count:     11
    .vgpr_spill_count: 0
    .wavefront_size: 32
    .workgroup_processor_mode: 1
  - .args:
      - .offset:         0
        .size:           4
        .value_kind:     by_value
      - .address_space:  global
        .offset:         8
        .size:           8
        .value_kind:     global_buffer
      - .offset:         16
        .size:           4
        .value_kind:     by_value
      - .offset:         24
        .size:           8
        .value_kind:     by_value
      - .address_space:  global
        .offset:         32
        .size:           8
        .value_kind:     global_buffer
      - .offset:         40
        .size:           4
        .value_kind:     by_value
      - .offset:         48
        .size:           4
        .value_kind:     hidden_block_count_x
      - .offset:         52
        .size:           4
        .value_kind:     hidden_block_count_y
      - .offset:         56
        .size:           4
        .value_kind:     hidden_block_count_z
      - .offset:         60
        .size:           2
        .value_kind:     hidden_group_size_x
      - .offset:         62
        .size:           2
        .value_kind:     hidden_group_size_y
      - .offset:         64
        .size:           2
        .value_kind:     hidden_group_size_z
      - .offset:         66
        .size:           2
        .value_kind:     hidden_remainder_x
      - .offset:         68
        .size:           2
        .value_kind:     hidden_remainder_y
      - .offset:         70
        .size:           2
        .value_kind:     hidden_remainder_z
      - .offset:         88
        .size:           8
        .value_kind:     hidden_global_offset_x
      - .offset:         96
        .size:           8
        .value_kind:     hidden_global_offset_y
      - .offset:         104
        .size:           8
        .value_kind:     hidden_global_offset_z
      - .offset:         112
        .size:           2
        .value_kind:     hidden_grid_dims
    .group_segment_fixed_size: 0
    .kernarg_segment_align: 8
    .kernarg_segment_size: 304
    .language:       OpenCL C
    .language_version:
      - 2
      - 0
    .max_flat_workgroup_size: 256
    .name:           _ZL40rocblas_copy_triangular_syrk_herk_kernelILb0ELb0ELb1E19rocblas_complex_numIdEPKPS1_Li16ELi16EEviT3_ilPT2_i
    .private_segment_fixed_size: 0
    .sgpr_count:     18
    .sgpr_spill_count: 0
    .symbol:         _ZL40rocblas_copy_triangular_syrk_herk_kernelILb0ELb0ELb1E19rocblas_complex_numIdEPKPS1_Li16ELi16EEviT3_ilPT2_i.kd
    .uniform_work_group_size: 1
    .uses_dynamic_stack: false
    .vgpr_count:     11
    .vgpr_spill_count: 0
    .wavefront_size: 32
    .workgroup_processor_mode: 1
amdhsa.target:   amdgcn-amd-amdhsa--gfx1100
amdhsa.version:
  - 1
  - 2
...

	.end_amdgpu_metadata
